;; amdgpu-corpus repo=ROCm/aiter kind=harvested arch=n/a opt=n/a

/root/src/amdgpu-assembly/repos/ROCm__aiter/hsa/gfx950/fmoe/silu/fmoe_fp16_noquantFp16_g1u0_vs_atm_inlv_silu_1tg_32x512.co:	file format elf64-amdgpu

Disassembly of section .text:

0000000000002e00 <_ZN5aiter54fmoe_fp16_noquantFp16_g1u0_vs_atm_inlv_silu_1tg_32x512E>:
	s_and_b32 s1, s1, 0xffff                                   // 000000002E00: 8601FF01 0000FFFF
	s_load_dwordx2 s[8:9], s[0:1], 0x0                         // 000000002E08: C0060200 00000000
	s_load_dwordx2 s[16:17], s[0:1], 0x10                      // 000000002E10: C0060400 00000010
	s_load_dwordx2 s[20:21], s[0:1], 0x20                      // 000000002E18: C0060500 00000020
	s_load_dwordx2 s[32:33], s[0:1], 0x30                      // 000000002E20: C0060800 00000030
	s_load_dwordx2 s[12:13], s[0:1], 0x40                      // 000000002E28: C0060300 00000040
	s_load_dwordx2 s[28:29], s[0:1], 0x90                      // 000000002E30: C0060700 00000090
	s_load_dwordx2 s[24:25], s[0:1], 0xa0                      // 000000002E38: C0060600 000000A0
	s_load_dwordx2 s[30:31], s[0:1], 0xb0                      // 000000002E40: C0060780 000000B0
	s_load_dword s64, s[0:1], 0xc0                             // 000000002E48: C0021000 000000C0
	s_load_dword s65, s[0:1], 0xd0                             // 000000002E50: C0021040 000000D0
	s_load_dword s66, s[0:1], 0xe0                             // 000000002E58: C0021080 000000E0
	s_load_dword s67, s[0:1], 0xf0                             // 000000002E60: C00210C0 000000F0
	s_load_dword s68, s[0:1], 0x100                            // 000000002E68: C0021100 00000100
	s_load_dword s69, s[0:1], 0x110                            // 000000002E70: C0021140 00000110
	s_load_dword s70, s[0:1], 0x120                            // 000000002E78: C0021180 00000120
	s_load_dword s71, s[0:1], 0x130                            // 000000002E80: C00211C0 00000130
	s_load_dword s72, s[0:1], 0x140                            // 000000002E88: C0021200 00000140
	s_load_dword s73, s[0:1], 0x150                            // 000000002E90: C0021240 00000150
	v_lshrrev_b32_e32 v1, 10, v0                               // 000000002E98: 2002008A
	v_lshrrev_b32_e32 v2, 10, v1                               // 000000002E9C: 2004028A
	v_and_b32_e32 v2, 0x3ff, v2                                // 000000002EA0: 260404FF 000003FF
	v_and_b32_e32 v1, 0x3ff, v1                                // 000000002EA8: 260202FF 000003FF
	v_and_b32_e32 v0, 0x3ff, v0                                // 000000002EB0: 260000FF 000003FF
	v_lshrrev_b32_e32 v3, 6, v0                                // 000000002EB8: 20060086
	v_and_b32_e32 v0, 63, v0                                   // 000000002EBC: 260000BF
	s_mov_b32 s2, s2                                           // 000000002EC0: BE820002
	s_mov_b32 s3, s3                                           // 000000002EC4: BE830003
	s_mov_b32 s4, s4                                           // 000000002EC8: BE840004
	v_readfirstlane_b32 s7, v3                                 // 000000002ECC: 7E0E0503
	s_waitcnt lgkmcnt(0)                                       // 000000002ED0: BF8CC07F
	s_and_b32 s33, s33, 0xffff                                 // 000000002ED4: 8621FF21 0000FFFF
	s_load_dword s32, s[32:33], 0x0                            // 000000002EDC: C0020810 00000000
	s_and_b32 s29, s29, 0xffff                                 // 000000002EE4: 861DFF1D 0000FFFF
	s_and_b32 s31, s31, 0xffff                                 // 000000002EEC: 861FFF1F 0000FFFF
	s_and_b32 s9, s9, 0xffff                                   // 000000002EF4: 8609FF09 0000FFFF
	s_mul_i32 s60, s66, s68                                    // 000000002EFC: 923C4442
	s_mul_i32 s62, s66, s71                                    // 000000002F00: 923E4742
	s_mov_b32 s18, s60                                         // 000000002F04: BE92003C
	s_mov_b32 s22, -16                                         // 000000002F08: BE9600D0
	s_mov_b32 s14, -16                                         // 000000002F0C: BE8E00D0
	s_mov_b32 s26, -16                                         // 000000002F10: BE9A00D0
	s_mov_b32 s19, 0x20000                                     // 000000002F14: BE9300FF 00020000
	s_mov_b32 s23, 0x20000                                     // 000000002F1C: BE9700FF 00020000
	s_mov_b32 s15, 0x20000                                     // 000000002F24: BE8F00FF 00020000
	s_mov_b32 s27, 0x20000                                     // 000000002F2C: BE9B00FF 00020000
	s_and_b32 s17, s17, 0xffff                                 // 000000002F34: 8611FF11 0000FFFF
	s_and_b32 s21, s21, 0xffff                                 // 000000002F3C: 8615FF15 0000FFFF
	s_and_b32 s13, s13, 0xffff                                 // 000000002F44: 860DFF0D 0000FFFF
	s_and_b32 s25, s25, 0xffff                                 // 000000002F4C: 8619FF19 0000FFFF
	s_or_b32 s17, s17, 0x40000                                 // 000000002F54: 8711FF11 00040000
	s_or_b32 s21, s21, 0x40000                                 // 000000002F5C: 8715FF15 00040000
	s_or_b32 s13, s13, 0x40000                                 // 000000002F64: 870DFF0D 00040000
	s_or_b32 s25, s25, 0x40000                                 // 000000002F6C: 8719FF19 00040000
	v_accvgpr_write_b32 a255, 0                                // 000000002F74: D3D940FF 18000080
	v_mov_b32_e32 v255, 0                                      // 000000002F7C: 7FFE0280
	s_waitcnt lgkmcnt(0)                                       // 000000002F80: BF8CC07F
	s_mul_i32 s60, s3, 32                                      // 000000002F84: 923CA003
	s_cmp_lt_i32 s60, s32                                      // 000000002F88: BF04203C
	s_cbranch_scc0 label_188E                                  // 000000002F8C: BF84182A
	s_mov_b32 s80, 0                                           // 000000002F90: BED00080
	s_mov_b32 s81, s64                                         // 000000002F94: BED10040
	s_mul_i32 s60, s3, 4                                       // 000000002F98: 923C8403
	s_add_u32 s30, s60, s30                                    // 000000002F9C: 801E1E3C
	s_addc_u32 s31, 0, s31                                     // 000000002FA0: 821F1F80
	s_load_dword s5, s[30:31], 0x0                             // 000000002FA4: C002014F 00000000
	s_mul_i32 s60, s3, 32                                      // 000000002FAC: 923CA003
	s_add_u32 s60, s7, s60                                     // 000000002FB0: 803C3C07
	s_mul_i32 s60, 4, s60                                      // 000000002FB4: 923C3C84
	s_add_u32 s28, s60, s28                                    // 000000002FB8: 801C1C3C
	s_addc_u32 s29, 0, s29                                     // 000000002FBC: 821D1D80
	s_load_dword s82, s[28:29], 0x0                            // 000000002FC0: C002148E 00000000
	s_load_dword s83, s[28:29], 0x10                           // 000000002FC8: C00214CE 00000010
	s_load_dword s84, s[28:29], 0x20                           // 000000002FD0: C002150E 00000020
	s_load_dword s85, s[28:29], 0x30                           // 000000002FD8: C002154E 00000030
	s_load_dword s86, s[28:29], 0x40                           // 000000002FE0: C002158E 00000040
	s_load_dword s87, s[28:29], 0x50                           // 000000002FE8: C00215CE 00000050
	s_load_dword s88, s[28:29], 0x60                           // 000000002FF0: C002160E 00000060
	s_load_dword s89, s[28:29], 0x70                           // 000000002FF8: C002164E 00000070
	s_mul_i32 s60, s3, 32                                      // 000000003000: 923CA003
	s_mul_i32 s60, 4, s60                                      // 000000003004: 923C3C84
	s_add_u32 s24, s60, s24                                    // 000000003008: 8018183C
	s_addc_u32 s25, 0, s25                                     // 00000000300C: 82191980
	v_and_b32_e32 v54, 15, v0                                  // 000000003010: 266C008F
	v_lshlrev_b32_e32 v6, 2, v54                               // 000000003014: 240C6C82
	v_add_u32_e32 v7, 64, v6                                   // 000000003018: 680E0CC0
	buffer_load_dword v8, v6, s[24:27], 0 offen                // 00000000301C: E0501000 80060806
	buffer_load_dword v9, v7, s[24:27], 0 offen                // 000000003024: E0501000 80060907
	s_waitcnt lgkmcnt(0)                                       // 00000000302C: BF8CC07F
	v_lshlrev_b32_e32 v54, 2, v0                               // 000000003030: 246C0082
	s_and_b32 s82, s82, 0xffffff                               // 000000003034: 8652FF52 00FFFFFF
	s_mul_i32 s60, s82, s68                                    // 00000000303C: 923C4452
	v_add_u32_e64 v10, v54, s60                                // 000000003040: D134000A 00007936
	s_and_b32 s83, s83, 0xffffff                               // 000000003048: 8653FF53 00FFFFFF
	s_mul_i32 s60, s83, s68                                    // 000000003050: 923C4453
	v_add_u32_e64 v11, v54, s60                                // 000000003054: D134000B 00007936
	s_and_b32 s84, s84, 0xffffff                               // 00000000305C: 8654FF54 00FFFFFF
	s_mul_i32 s60, s84, s68                                    // 000000003064: 923C4454
	v_add_u32_e64 v12, v54, s60                                // 000000003068: D134000C 00007936
	s_and_b32 s85, s85, 0xffffff                               // 000000003070: 8655FF55 00FFFFFF
	s_mul_i32 s60, s85, s68                                    // 000000003078: 923C4455
	v_add_u32_e64 v13, v54, s60                                // 00000000307C: D134000D 00007936
	s_and_b32 s86, s86, 0xffffff                               // 000000003084: 8656FF56 00FFFFFF
	s_mul_i32 s60, s86, s68                                    // 00000000308C: 923C4456
	v_add_u32_e64 v14, v54, s60                                // 000000003090: D134000E 00007936
	s_and_b32 s87, s87, 0xffffff                               // 000000003098: 8657FF57 00FFFFFF
	s_mul_i32 s60, s87, s68                                    // 0000000030A0: 923C4457
	v_add_u32_e64 v15, v54, s60                                // 0000000030A4: D134000F 00007936
	s_and_b32 s88, s88, 0xffffff                               // 0000000030AC: 8658FF58 00FFFFFF
	s_mul_i32 s60, s88, s68                                    // 0000000030B4: 923C4458
	v_add_u32_e64 v16, v54, s60                                // 0000000030B8: D1340010 00007936
	s_and_b32 s89, s89, 0xffffff                               // 0000000030C0: 8659FF59 00FFFFFF
	s_mul_i32 s60, s89, s68                                    // 0000000030C8: 923C4459
	v_add_u32_e64 v17, v54, s60                                // 0000000030CC: D1340011 00007936
	v_lshlrev_b32_e32 v54, 2, v0                               // 0000000030D4: 246C0082
	s_mul_i32 s60, s82, s71                                    // 0000000030D8: 923C4752
	v_add_u32_e64 v34, v54, s60                                // 0000000030DC: D1340022 00007936
	v_mov_b32_e32 v35, 0                                       // 0000000030E4: 7E460280
	s_mul_i32 s60, s83, s71                                    // 0000000030E8: 923C4753
	v_add_u32_e64 v36, v54, s60                                // 0000000030EC: D1340024 00007936
	v_mov_b32_e32 v37, 0                                       // 0000000030F4: 7E4A0280
	s_mul_i32 s60, s84, s71                                    // 0000000030F8: 923C4754
	v_add_u32_e64 v38, v54, s60                                // 0000000030FC: D1340026 00007936
	v_mov_b32_e32 v39, 0                                       // 000000003104: 7E4E0280
	s_mul_i32 s60, s85, s71                                    // 000000003108: 923C4755
	v_add_u32_e64 v40, v54, s60                                // 00000000310C: D1340028 00007936
	v_mov_b32_e32 v41, 0                                       // 000000003114: 7E520280
	s_mul_i32 s60, s86, s71                                    // 000000003118: 923C4756
	v_add_u32_e64 v42, v54, s60                                // 00000000311C: D134002A 00007936
	v_mov_b32_e32 v43, 0                                       // 000000003124: 7E560280
	s_mul_i32 s60, s87, s71                                    // 000000003128: 923C4757
	v_add_u32_e64 v44, v54, s60                                // 00000000312C: D134002C 00007936
	v_mov_b32_e32 v45, 0                                       // 000000003134: 7E5A0280
	s_mul_i32 s60, s88, s71                                    // 000000003138: 923C4758
	v_add_u32_e64 v46, v54, s60                                // 00000000313C: D134002E 00007936
	v_mov_b32_e32 v47, 0                                       // 000000003144: 7E5E0280
	s_mul_i32 s60, s89, s71                                    // 000000003148: 923C4759
	v_add_u32_e64 v48, v54, s60                                // 00000000314C: D1340030 00007936
	v_mov_b32_e32 v49, 0                                       // 000000003154: 7E620280
	s_mul_i32 s60, s7, 0x820                                   // 000000003158: 923CFF07 00000820
	s_add_u32 s36, 0, s60                                      // 000000003160: 80243C80
	s_add_u32 s37, 0x2080, s36                                 // 000000003164: 802524FF 00002080
	v_lshrrev_b32_e32 v54, 4, v0                               // 00000000316C: 206C0084
	v_lshlrev_b32_e32 v55, 2, v54                              // 000000003170: 246E6C82
	v_and_b32_e32 v54, 15, v0                                  // 000000003174: 266C008F
	v_lshrrev_b32_e32 v56, 2, v54                              // 000000003178: 20706C82
	v_lshlrev_b32_e32 v56, 6, v56                              // 00000000317C: 24707086
	v_add_u32_e32 v55, v56, v55                                // 000000003180: 686E6F38
	v_and_b32_e32 v54, 3, v0                                   // 000000003184: 266C0083
	v_mul_i32_i24_e32 v56, 0x208, v54                          // 000000003188: 0C706CFF 00000208
	v_add_u32_e32 v55, v56, v55                                // 000000003190: 686E6F38
	v_lshlrev_b32_e32 v2, 2, v55                               // 000000003194: 24046E82
	s_mul_i32 s60, s2, 0x200                                   // 000000003198: 923CFF02 00000200
	s_mul_i32 s60, s60, s69                                    // 0000000031A0: 923C453C
	s_mul_i32 s61, s5, s72                                     // 0000000031A4: 923D4805
	s_add_u32 s60, s61, s60                                    // 0000000031A8: 803C3C3D
	s_add_u32 s20, s60, s20                                    // 0000000031AC: 8014143C
	s_addc_u32 s21, 0, s21                                     // 0000000031B0: 82151580
	s_mul_i32 s60, s7, 16                                      // 0000000031B4: 923C9007
	s_mul_i32 s60, s60, s69                                    // 0000000031B8: 923C453C
	v_lshlrev_b32_e32 v26, 4, v0                               // 0000000031BC: 24340084
	v_add_u32_e32 v26, s60, v26                                // 0000000031C0: 6834343C
	s_mul_i32 s60, 64, s69                                     // 0000000031C4: 923C45C0
	v_add_u32_e32 v27, s60, v26                                // 0000000031C8: 6836343C
	v_add_u32_e32 v28, s60, v27                                // 0000000031CC: 6838363C
	v_add_u32_e32 v29, s60, v28                                // 0000000031D0: 683A383C
	v_add_u32_e32 v30, s60, v29                                // 0000000031D4: 683C3A3C
	v_add_u32_e32 v31, s60, v30                                // 0000000031D8: 683E3C3C
	v_add_u32_e32 v32, s60, v31                                // 0000000031DC: 68403E3C
	v_add_u32_e32 v33, s60, v32                                // 0000000031E0: 6842403C
	s_mul_i32 s60, s2, 0x4000                                  // 0000000031E4: 923CFF02 00004000
	s_mul_i32 s61, s5, s73                                     // 0000000031EC: 923D4905
	s_add_u32 s60, s61, s60                                    // 0000000031F0: 803C3C3D
	s_add_u32 s12, s60, s12                                    // 0000000031F4: 800C0C3C
	s_addc_u32 s13, 0, s13                                     // 0000000031F8: 820D0D80
	s_mul_i32 s60, s7, 16                                      // 0000000031FC: 923C9007
	s_mul_i32 s60, s60, s70                                    // 000000003200: 923C463C
	v_lshlrev_b32_e32 v18, 4, v0                               // 000000003204: 24240084
	v_add_u32_e32 v18, s60, v18                                // 000000003208: 6824243C
	s_mul_i32 s60, 64, s70                                     // 00000000320C: 923C46C0
	v_add_u32_e32 v19, s60, v18                                // 000000003210: 6826243C
	v_add_u32_e32 v20, 0x1000, v18                             // 000000003214: 682824FF 00001000
	v_add_u32_e32 v21, 0x1000, v19                             // 00000000321C: 682A26FF 00001000
	v_add_u32_e32 v22, 0x1000, v20                             // 000000003224: 682C28FF 00001000
	v_add_u32_e32 v23, 0x1000, v21                             // 00000000322C: 682E2AFF 00001000
	v_add_u32_e32 v24, 0x1000, v22                             // 000000003234: 68302CFF 00001000
	v_add_u32_e32 v25, 0x1000, v23                             // 00000000323C: 68322EFF 00001000
	s_mul_i32 s56, s70, 0x80                                   // 000000003244: 9238FF46 00000080
	s_mov_b32 s57, 0x100                                       // 00000000324C: BEB900FF 00000100
	s_mov_b32 s58, 0x1000                                      // 000000003254: BEBA00FF 00001000
	s_mov_b32 s59, 0                                           // 00000000325C: BEBB0080
	s_mov_b32 s52, 0x7060302                                   // 000000003260: BEB400FF 07060302
	s_mov_b32 s6, 0x3fb8aa3b                                   // 000000003268: BE8600FF 3FB8AA3B
	s_mov_b32 s77, 0xbd92220c                                  // 000000003270: BECD00FF BD92220C
	s_mov_b32 m0, s36                                          // 000000003278: BEFC0024
	v_mov_b32_e32 v5, 0xbfcc4231                               // 00000000327C: 7E0A02FF BFCC4231
	v_mov_b32_e32 v51, 0xffff0000                              // 000000003284: 7E6602FF FFFF0000
	v_mov_b32_e32 v52, 0x7fff0000                              // 00000000328C: 7E6802FF 7FFF0000
	v_mov_b32_e32 v53, 0x7fff                                  // 000000003294: 7E6A02FF 00007FFF
	buffer_load_dword v10, s[16:19], 0 offen lds               // 00000000329C: E0511000 8004000A
	s_add_u32 m0, 0x100, s36                                   // 0000000032A4: 807C24FF 00000100
	buffer_load_dword v11, s[16:19], 0 offen lds               // 0000000032AC: E0511000 8004000B
	s_add_u32 m0, 0x200, s36                                   // 0000000032B4: 807C24FF 00000200
	buffer_load_dword v12, s[16:19], 0 offen lds               // 0000000032BC: E0511000 8004000C
	s_add_u32 m0, 0x300, s36                                   // 0000000032C4: 807C24FF 00000300
	buffer_load_dword v13, s[16:19], 0 offen lds               // 0000000032CC: E0511000 8004000D
	s_add_u32 m0, 0x400, s36                                   // 0000000032D4: 807C24FF 00000400
	buffer_load_dword v14, s[16:19], 0 offen lds               // 0000000032DC: E0511000 8004000E
	s_add_u32 m0, 0x500, s36                                   // 0000000032E4: 807C24FF 00000500
	buffer_load_dword v15, s[16:19], 0 offen lds               // 0000000032EC: E0511000 8004000F
	s_add_u32 m0, 0x600, s36                                   // 0000000032F4: 807C24FF 00000600
	buffer_load_dword v16, s[16:19], 0 offen lds               // 0000000032FC: E0511000 80040010
	s_add_u32 m0, 0x700, s36                                   // 000000003304: 807C24FF 00000700
	buffer_load_dword v17, s[16:19], 0 offen lds               // 00000000330C: E0511000 80040011
	s_add_u32 m0, 0, s37                                       // 000000003314: 807C2580
	s_add_u32 s16, s57, s16                                    // 000000003318: 80101039
	s_addc_u32 s17, 0, s17                                     // 00000000331C: 82111180
	buffer_load_dword v10, s[16:19], 0 offen lds               // 000000003320: E0511000 8004000A
	s_add_u32 m0, 0x100, s37                                   // 000000003328: 807C25FF 00000100
	buffer_load_dword v11, s[16:19], 0 offen lds               // 000000003330: E0511000 8004000B
	s_add_u32 m0, 0x200, s37                                   // 000000003338: 807C25FF 00000200
	buffer_load_dword v12, s[16:19], 0 offen lds               // 000000003340: E0511000 8004000C
	s_add_u32 m0, 0x300, s37                                   // 000000003348: 807C25FF 00000300
	buffer_load_dword v13, s[16:19], 0 offen lds               // 000000003350: E0511000 8004000D
	s_add_u32 m0, 0x400, s37                                   // 000000003358: 807C25FF 00000400
	buffer_load_dword v14, s[16:19], 0 offen lds               // 000000003360: E0511000 8004000E
	s_add_u32 m0, 0x500, s37                                   // 000000003368: 807C25FF 00000500
	buffer_load_dword v15, s[16:19], 0 offen lds               // 000000003370: E0511000 8004000F
	s_add_u32 m0, 0x600, s37                                   // 000000003378: 807C25FF 00000600
	buffer_load_dword v16, s[16:19], 0 offen lds               // 000000003380: E0511000 80040010
	s_add_u32 m0, 0x700, s37                                   // 000000003388: 807C25FF 00000700
	buffer_load_dword v17, s[16:19], 0 offen lds               // 000000003390: E0511000 80040011
	s_add_u32 m0, 0, s36                                       // 000000003398: 807C2480
	s_add_u32 s16, s57, s16                                    // 00000000339C: 80101039
	s_addc_u32 s17, 0, s17                                     // 0000000033A0: 82111180
	buffer_load_dwordx4 a[0:3], v26, s[20:23], 0 offen         // 0000000033A4: E05C1000 8085001A
	buffer_load_dwordx4 a[4:7], v26, s[20:23], 0 offen offset:1024// 0000000033AC: E05C1400 8085041A
	buffer_load_dwordx4 a[8:11], v26, s[20:23], 0 offen offset:2048// 0000000033B4: E05C1800 8085081A
	buffer_load_dwordx4 a[12:15], v26, s[20:23], 0 offen offset:3072// 0000000033BC: E05C1C00 80850C1A
	buffer_load_dwordx4 a[16:19], v27, s[20:23], 0 offen       // 0000000033C4: E05C1000 8085101B
	buffer_load_dwordx4 a[20:23], v27, s[20:23], 0 offen offset:1024// 0000000033CC: E05C1400 8085141B
	buffer_load_dwordx4 a[24:27], v27, s[20:23], 0 offen offset:2048// 0000000033D4: E05C1800 8085181B
	buffer_load_dwordx4 a[28:31], v27, s[20:23], 0 offen offset:3072// 0000000033DC: E05C1C00 80851C1B
	buffer_load_dwordx4 a[32:35], v28, s[20:23], 0 offen       // 0000000033E4: E05C1000 8085201C
	buffer_load_dwordx4 a[36:39], v28, s[20:23], 0 offen offset:1024// 0000000033EC: E05C1400 8085241C
	buffer_load_dwordx4 a[40:43], v28, s[20:23], 0 offen offset:2048// 0000000033F4: E05C1800 8085281C
	buffer_load_dwordx4 a[44:47], v28, s[20:23], 0 offen offset:3072// 0000000033FC: E05C1C00 80852C1C
	buffer_load_dwordx4 a[48:51], v29, s[20:23], 0 offen       // 000000003404: E05C1000 8085301D
	buffer_load_dwordx4 a[52:55], v29, s[20:23], 0 offen offset:1024// 00000000340C: E05C1400 8085341D
	buffer_load_dwordx4 a[56:59], v29, s[20:23], 0 offen offset:2048// 000000003414: E05C1800 8085381D
	buffer_load_dwordx4 a[60:63], v29, s[20:23], 0 offen offset:3072// 00000000341C: E05C1C00 80853C1D
	buffer_load_dwordx4 a[64:67], v30, s[20:23], 0 offen       // 000000003424: E05C1000 8085401E
	buffer_load_dwordx4 a[68:71], v30, s[20:23], 0 offen offset:1024// 00000000342C: E05C1400 8085441E
	buffer_load_dwordx4 a[72:75], v30, s[20:23], 0 offen offset:2048// 000000003434: E05C1800 8085481E
	buffer_load_dwordx4 a[76:79], v30, s[20:23], 0 offen offset:3072// 00000000343C: E05C1C00 80854C1E
	buffer_load_dwordx4 a[80:83], v31, s[20:23], 0 offen       // 000000003444: E05C1000 8085501F
	buffer_load_dwordx4 a[84:87], v31, s[20:23], 0 offen offset:1024// 00000000344C: E05C1400 8085541F
	buffer_load_dwordx4 a[88:91], v31, s[20:23], 0 offen offset:2048// 000000003454: E05C1800 8085581F
	buffer_load_dwordx4 a[92:95], v31, s[20:23], 0 offen offset:3072// 00000000345C: E05C1C00 80855C1F
	buffer_load_dwordx4 a[96:99], v32, s[20:23], 0 offen       // 000000003464: E05C1000 80856020
	buffer_load_dwordx4 a[100:103], v32, s[20:23], 0 offen offset:1024// 00000000346C: E05C1400 80856420
	buffer_load_dwordx4 a[104:107], v32, s[20:23], 0 offen offset:2048// 000000003474: E05C1800 80856820
	buffer_load_dwordx4 a[108:111], v32, s[20:23], 0 offen offset:3072// 00000000347C: E05C1C00 80856C20
	buffer_load_dwordx4 a[112:115], v33, s[20:23], 0 offen     // 000000003484: E05C1000 80857021
	buffer_load_dwordx4 a[116:119], v33, s[20:23], 0 offen offset:1024// 00000000348C: E05C1400 80857421
	buffer_load_dwordx4 a[120:123], v33, s[20:23], 0 offen offset:2048// 000000003494: E05C1800 80857821
	buffer_load_dwordx4 a[124:127], v33, s[20:23], 0 offen offset:3072// 00000000349C: E05C1C00 80857C21
	s_add_u32 s20, s58, s20                                    // 0000000034A4: 8014143A
	s_addc_u32 s21, 0, s21                                     // 0000000034A8: 82151580
	v_mov_b32_e32 v128, 0                                      // 0000000034AC: 7F000280
	v_mov_b32_e32 v129, 0                                      // 0000000034B0: 7F020280
	v_mov_b32_e32 v130, 0                                      // 0000000034B4: 7F040280
	v_mov_b32_e32 v131, 0                                      // 0000000034B8: 7F060280
	v_mov_b32_e32 v132, 0                                      // 0000000034BC: 7F080280
	v_mov_b32_e32 v133, 0                                      // 0000000034C0: 7F0A0280
	v_mov_b32_e32 v134, 0                                      // 0000000034C4: 7F0C0280
	v_mov_b32_e32 v135, 0                                      // 0000000034C8: 7F0E0280
	v_mov_b32_e32 v136, 0                                      // 0000000034CC: 7F100280
	v_mov_b32_e32 v137, 0                                      // 0000000034D0: 7F120280
	v_mov_b32_e32 v138, 0                                      // 0000000034D4: 7F140280
	v_mov_b32_e32 v139, 0                                      // 0000000034D8: 7F160280
	v_mov_b32_e32 v140, 0                                      // 0000000034DC: 7F180280
	v_mov_b32_e32 v141, 0                                      // 0000000034E0: 7F1A0280
	v_mov_b32_e32 v142, 0                                      // 0000000034E4: 7F1C0280
	v_mov_b32_e32 v143, 0                                      // 0000000034E8: 7F1E0280
	v_mov_b32_e32 v144, 0                                      // 0000000034EC: 7F200280
	v_mov_b32_e32 v145, 0                                      // 0000000034F0: 7F220280
	v_mov_b32_e32 v146, 0                                      // 0000000034F4: 7F240280
	v_mov_b32_e32 v147, 0                                      // 0000000034F8: 7F260280
	v_mov_b32_e32 v148, 0                                      // 0000000034FC: 7F280280
	v_mov_b32_e32 v149, 0                                      // 000000003500: 7F2A0280
	v_mov_b32_e32 v150, 0                                      // 000000003504: 7F2C0280
	v_mov_b32_e32 v151, 0                                      // 000000003508: 7F2E0280
	v_mov_b32_e32 v152, 0                                      // 00000000350C: 7F300280
	v_mov_b32_e32 v153, 0                                      // 000000003510: 7F320280
	v_mov_b32_e32 v154, 0                                      // 000000003514: 7F340280
	v_mov_b32_e32 v155, 0                                      // 000000003518: 7F360280
	v_mov_b32_e32 v156, 0                                      // 00000000351C: 7F380280
	v_mov_b32_e32 v157, 0                                      // 000000003520: 7F3A0280
	v_mov_b32_e32 v158, 0                                      // 000000003524: 7F3C0280
	v_mov_b32_e32 v159, 0                                      // 000000003528: 7F3E0280
	v_mov_b32_e32 v160, 0                                      // 00000000352C: 7F400280
	v_mov_b32_e32 v161, 0                                      // 000000003530: 7F420280
	v_mov_b32_e32 v162, 0                                      // 000000003534: 7F440280
	v_mov_b32_e32 v163, 0                                      // 000000003538: 7F460280
	v_mov_b32_e32 v164, 0                                      // 00000000353C: 7F480280
	v_mov_b32_e32 v165, 0                                      // 000000003540: 7F4A0280
	v_mov_b32_e32 v166, 0                                      // 000000003544: 7F4C0280
	v_mov_b32_e32 v167, 0                                      // 000000003548: 7F4E0280
	v_mov_b32_e32 v168, 0                                      // 00000000354C: 7F500280
	v_mov_b32_e32 v169, 0                                      // 000000003550: 7F520280
	v_mov_b32_e32 v170, 0                                      // 000000003554: 7F540280
	v_mov_b32_e32 v171, 0                                      // 000000003558: 7F560280
	v_mov_b32_e32 v172, 0                                      // 00000000355C: 7F580280
	v_mov_b32_e32 v173, 0                                      // 000000003560: 7F5A0280
	v_mov_b32_e32 v174, 0                                      // 000000003564: 7F5C0280
	v_mov_b32_e32 v175, 0                                      // 000000003568: 7F5E0280
	v_mov_b32_e32 v176, 0                                      // 00000000356C: 7F600280
	v_mov_b32_e32 v177, 0                                      // 000000003570: 7F620280
	v_mov_b32_e32 v178, 0                                      // 000000003574: 7F640280
	v_mov_b32_e32 v179, 0                                      // 000000003578: 7F660280
	v_mov_b32_e32 v180, 0                                      // 00000000357C: 7F680280
	v_mov_b32_e32 v181, 0                                      // 000000003580: 7F6A0280
	v_mov_b32_e32 v182, 0                                      // 000000003584: 7F6C0280
	v_mov_b32_e32 v183, 0                                      // 000000003588: 7F6E0280
	v_mov_b32_e32 v184, 0                                      // 00000000358C: 7F700280
	v_mov_b32_e32 v185, 0                                      // 000000003590: 7F720280
	v_mov_b32_e32 v186, 0                                      // 000000003594: 7F740280
	v_mov_b32_e32 v187, 0                                      // 000000003598: 7F760280
	v_mov_b32_e32 v188, 0                                      // 00000000359C: 7F780280
	v_mov_b32_e32 v189, 0                                      // 0000000035A0: 7F7A0280
	v_mov_b32_e32 v190, 0                                      // 0000000035A4: 7F7C0280
	v_mov_b32_e32 v191, 0                                      // 0000000035A8: 7F7E0280
	v_lshrrev_b32_e32 v54, 4, v0                               // 0000000035AC: 206C0084
	v_mul_i32_i24_e32 v3, 34, v54                              // 0000000035B0: 0C066CA2
	v_and_b32_e32 v54, 15, v0                                  // 0000000035B4: 266C008F
	v_mul_i32_i24_e32 v55, 2, v54                              // 0000000035B8: 0C6E6C82
	v_add_u32_e32 v3, v55, v3                                  // 0000000035BC: 68060737
	s_mul_i32 s60, s7, 0x88                                    // 0000000035C0: 923CFF07 00000088
	v_add_u32_e32 v3, s60, v3                                  // 0000000035C8: 6806063C
	v_lshlrev_b32_e32 v3, 2, v3                                // 0000000035CC: 24060682
	v_lshrrev_b32_e32 v54, 1, v0                               // 0000000035D0: 206C0081
	v_mul_i32_i24_e32 v4, 34, v54                              // 0000000035D4: 0C086CA2
	v_and_b32_e32 v55, 1, v0                                   // 0000000035D8: 266E0081
	v_add_u32_e32 v4, v55, v4                                  // 0000000035DC: 68080937
	s_mul_i32 s60, s7, 2                                       // 0000000035E0: 923C8207
	v_add_u32_e32 v4, s60, v4                                  // 0000000035E4: 6808083C
	v_lshlrev_b32_e32 v4, 2, v4                                // 0000000035E8: 24080882
	s_waitcnt vmcnt(40)                                        // 0000000035EC: BF8C8F78
	s_barrier                                                  // 0000000035F0: BF8A0000
	ds_read_b128 v[64:67], v2                                  // 0000000035F4: D9FE0000 40000002
	ds_read_b128 v[68:71], v2 offset:64                        // 0000000035FC: D9FE0040 44000002
	ds_read_b128 v[72:75], v2 offset:128                       // 000000003604: D9FE0080 48000002
	ds_read_b128 v[76:79], v2 offset:192                       // 00000000360C: D9FE00C0 4C000002
	ds_read_b128 v[80:83], v2 offset:1024                      // 000000003614: D9FE0400 50000002
	ds_read_b128 v[84:87], v2 offset:1088                      // 00000000361C: D9FE0440 54000002
	ds_read_b128 v[88:91], v2 offset:1152                      // 000000003624: D9FE0480 58000002
	ds_read_b128 v[92:95], v2 offset:1216                      // 00000000362C: D9FE04C0 5C000002
	s_cmp_lt_i32 s7, 2                                         // 000000003634: BF048207
	s_cbranch_scc0 label_0D18                                  // 000000003638: BF840B09

000000000000363c <label_020F>:
	s_waitcnt vmcnt(24) lgkmcnt(0)                             // 00000000363C: BF8C4078
	s_barrier                                                  // 000000003640: BF8A0000
	v_mfma_f32_16x16x16_bf16 v[128:131], a[0:1], v[64:65], v[128:131]// 000000003644: D3E10080 0E028100
	v_mfma_f32_16x16x16_bf16 v[128:131], a[2:3], v[66:67], v[128:131]// 00000000364C: D3E10080 0E028502
	buffer_load_dwordx4 a[128:131], v26, s[20:23], 0 offen     // 000000003654: E05C1000 8085801A
	v_mfma_f32_16x16x16_bf16 v[128:131], a[4:5], v[68:69], v[128:131]// 00000000365C: D3E10080 0E028904
	v_mfma_f32_16x16x16_bf16 v[128:131], a[6:7], v[70:71], v[128:131]// 000000003664: D3E10080 0E028D06
	buffer_load_dword v10, s[16:19], 0 offen lds               // 00000000366C: E0511000 8004000A
	s_add_u32 m0, 0x100, s36                                   // 000000003674: 807C24FF 00000100
	v_mfma_f32_16x16x16_bf16 v[128:131], a[8:9], v[72:73], v[128:131]// 00000000367C: D3E10080 0E029108
	v_mfma_f32_16x16x16_bf16 v[128:131], a[10:11], v[74:75], v[128:131]// 000000003684: D3E10080 0E02950A
	buffer_load_dwordx4 a[132:135], v26, s[20:23], 0 offen offset:1024// 00000000368C: E05C1400 8085841A
	v_mfma_f32_16x16x16_bf16 v[128:131], a[12:13], v[76:77], v[128:131]// 000000003694: D3E10080 0E02990C
	v_mfma_f32_16x16x16_bf16 v[128:131], a[14:15], v[78:79], v[128:131]// 00000000369C: D3E10080 0E029D0E
	buffer_load_dword v11, s[16:19], 0 offen lds               // 0000000036A4: E0511000 8004000B
	s_add_u32 m0, 0x200, s36                                   // 0000000036AC: 807C24FF 00000200
	v_mfma_f32_16x16x16_bf16 v[132:135], a[0:1], v[80:81], v[132:135]// 0000000036B4: D3E10084 0E12A100
	v_mfma_f32_16x16x16_bf16 v[132:135], a[2:3], v[82:83], v[132:135]// 0000000036BC: D3E10084 0E12A502
	buffer_load_dwordx4 a[136:139], v26, s[20:23], 0 offen offset:2048// 0000000036C4: E05C1800 8085881A
	v_mfma_f32_16x16x16_bf16 v[132:135], a[4:5], v[84:85], v[132:135]// 0000000036CC: D3E10084 0E12A904
	v_mfma_f32_16x16x16_bf16 v[132:135], a[6:7], v[86:87], v[132:135]// 0000000036D4: D3E10084 0E12AD06
	buffer_load_dword v12, s[16:19], 0 offen lds               // 0000000036DC: E0511000 8004000C
	s_add_u32 m0, 0x300, s36                                   // 0000000036E4: 807C24FF 00000300
	v_mfma_f32_16x16x16_bf16 v[132:135], a[8:9], v[88:89], v[132:135]// 0000000036EC: D3E10084 0E12B108
	v_mfma_f32_16x16x16_bf16 v[132:135], a[10:11], v[90:91], v[132:135]// 0000000036F4: D3E10084 0E12B50A
	buffer_load_dwordx4 a[140:143], v26, s[20:23], 0 offen offset:3072// 0000000036FC: E05C1C00 80858C1A
	v_mfma_f32_16x16x16_bf16 v[132:135], a[12:13], v[92:93], v[132:135]// 000000003704: D3E10084 0E12B90C
	v_mfma_f32_16x16x16_bf16 v[132:135], a[14:15], v[94:95], v[132:135]// 00000000370C: D3E10084 0E12BD0E
	buffer_load_dword v13, s[16:19], 0 offen lds               // 000000003714: E0511000 8004000D
	s_add_u32 m0, 0x400, s36                                   // 00000000371C: 807C24FF 00000400
	v_mfma_f32_16x16x16_bf16 v[136:139], a[16:17], v[64:65], v[136:139]// 000000003724: D3E10088 0E228110
	v_mfma_f32_16x16x16_bf16 v[136:139], a[18:19], v[66:67], v[136:139]// 00000000372C: D3E10088 0E228512
	buffer_load_dwordx4 a[144:147], v27, s[20:23], 0 offen     // 000000003734: E05C1000 8085901B
	v_mfma_f32_16x16x16_bf16 v[136:139], a[20:21], v[68:69], v[136:139]// 00000000373C: D3E10088 0E228914
	v_mfma_f32_16x16x16_bf16 v[136:139], a[22:23], v[70:71], v[136:139]// 000000003744: D3E10088 0E228D16
	buffer_load_dword v14, s[16:19], 0 offen lds               // 00000000374C: E0511000 8004000E
	s_add_u32 m0, 0x500, s36                                   // 000000003754: 807C24FF 00000500
	v_mfma_f32_16x16x16_bf16 v[136:139], a[24:25], v[72:73], v[136:139]// 00000000375C: D3E10088 0E229118
	v_mfma_f32_16x16x16_bf16 v[136:139], a[26:27], v[74:75], v[136:139]// 000000003764: D3E10088 0E22951A
	buffer_load_dwordx4 a[148:151], v27, s[20:23], 0 offen offset:1024// 00000000376C: E05C1400 8085941B
	v_mfma_f32_16x16x16_bf16 v[136:139], a[28:29], v[76:77], v[136:139]// 000000003774: D3E10088 0E22991C
	v_mfma_f32_16x16x16_bf16 v[136:139], a[30:31], v[78:79], v[136:139]// 00000000377C: D3E10088 0E229D1E
	buffer_load_dword v15, s[16:19], 0 offen lds               // 000000003784: E0511000 8004000F
	s_add_u32 m0, 0x600, s36                                   // 00000000378C: 807C24FF 00000600
	v_mfma_f32_16x16x16_bf16 v[140:143], a[16:17], v[80:81], v[140:143]// 000000003794: D3E1008C 0E32A110
	v_mfma_f32_16x16x16_bf16 v[140:143], a[18:19], v[82:83], v[140:143]// 00000000379C: D3E1008C 0E32A512
	buffer_load_dwordx4 a[152:155], v27, s[20:23], 0 offen offset:2048// 0000000037A4: E05C1800 8085981B
	v_mfma_f32_16x16x16_bf16 v[140:143], a[20:21], v[84:85], v[140:143]// 0000000037AC: D3E1008C 0E32A914
	v_mfma_f32_16x16x16_bf16 v[140:143], a[22:23], v[86:87], v[140:143]// 0000000037B4: D3E1008C 0E32AD16
	buffer_load_dword v16, s[16:19], 0 offen lds               // 0000000037BC: E0511000 80040010
	s_add_u32 m0, 0x700, s36                                   // 0000000037C4: 807C24FF 00000700
	v_mfma_f32_16x16x16_bf16 v[140:143], a[24:25], v[88:89], v[140:143]// 0000000037CC: D3E1008C 0E32B118
	v_mfma_f32_16x16x16_bf16 v[140:143], a[26:27], v[90:91], v[140:143]// 0000000037D4: D3E1008C 0E32B51A
	buffer_load_dwordx4 a[156:159], v27, s[20:23], 0 offen offset:3072// 0000000037DC: E05C1C00 80859C1B
	v_mfma_f32_16x16x16_bf16 v[140:143], a[28:29], v[92:93], v[140:143]// 0000000037E4: D3E1008C 0E32B91C
	v_mfma_f32_16x16x16_bf16 v[140:143], a[30:31], v[94:95], v[140:143]// 0000000037EC: D3E1008C 0E32BD1E
	buffer_load_dword v17, s[16:19], 0 offen lds               // 0000000037F4: E0511000 80040011
	s_add_u32 m0, 0, s37                                       // 0000000037FC: 807C2580
	s_waitcnt vmcnt(32)                                        // 000000003800: BF8C8F70
	v_mfma_f32_16x16x16_bf16 v[144:147], a[32:33], v[64:65], v[144:147]// 000000003804: D3E10090 0E428120
	v_mfma_f32_16x16x16_bf16 v[144:147], a[34:35], v[66:67], v[144:147]// 00000000380C: D3E10090 0E428522
	buffer_load_dwordx4 a[160:163], v28, s[20:23], 0 offen     // 000000003814: E05C1000 8085A01C
	v_mfma_f32_16x16x16_bf16 v[144:147], a[36:37], v[68:69], v[144:147]// 00000000381C: D3E10090 0E428924
	v_mfma_f32_16x16x16_bf16 v[144:147], a[38:39], v[70:71], v[144:147]// 000000003824: D3E10090 0E428D26
	ds_read_b128 v[96:99], v2 offset:8320                      // 00000000382C: D9FE2080 60000002
	v_mfma_f32_16x16x16_bf16 v[144:147], a[40:41], v[72:73], v[144:147]// 000000003834: D3E10090 0E429128
	v_mfma_f32_16x16x16_bf16 v[144:147], a[42:43], v[74:75], v[144:147]// 00000000383C: D3E10090 0E42952A
	buffer_load_dwordx4 a[164:167], v28, s[20:23], 0 offen offset:1024// 000000003844: E05C1400 8085A41C
	v_mfma_f32_16x16x16_bf16 v[144:147], a[44:45], v[76:77], v[144:147]// 00000000384C: D3E10090 0E42992C
	v_mfma_f32_16x16x16_bf16 v[144:147], a[46:47], v[78:79], v[144:147]// 000000003854: D3E10090 0E429D2E
	ds_read_b128 v[100:103], v2 offset:8384                    // 00000000385C: D9FE20C0 64000002
	v_mfma_f32_16x16x16_bf16 v[148:151], a[32:33], v[80:81], v[148:151]// 000000003864: D3E10094 0E52A120
	v_mfma_f32_16x16x16_bf16 v[148:151], a[34:35], v[82:83], v[148:151]// 00000000386C: D3E10094 0E52A522
	buffer_load_dwordx4 a[168:171], v28, s[20:23], 0 offen offset:2048// 000000003874: E05C1800 8085A81C
	v_mfma_f32_16x16x16_bf16 v[148:151], a[36:37], v[84:85], v[148:151]// 00000000387C: D3E10094 0E52A924
	v_mfma_f32_16x16x16_bf16 v[148:151], a[38:39], v[86:87], v[148:151]// 000000003884: D3E10094 0E52AD26
	ds_read_b128 v[104:107], v2 offset:8448                    // 00000000388C: D9FE2100 68000002
	v_mfma_f32_16x16x16_bf16 v[148:151], a[40:41], v[88:89], v[148:151]// 000000003894: D3E10094 0E52B128
	v_mfma_f32_16x16x16_bf16 v[148:151], a[42:43], v[90:91], v[148:151]// 00000000389C: D3E10094 0E52B52A
	buffer_load_dwordx4 a[172:175], v28, s[20:23], 0 offen offset:3072// 0000000038A4: E05C1C00 8085AC1C
	v_mfma_f32_16x16x16_bf16 v[148:151], a[44:45], v[92:93], v[148:151]// 0000000038AC: D3E10094 0E52B92C
	v_mfma_f32_16x16x16_bf16 v[148:151], a[46:47], v[94:95], v[148:151]// 0000000038B4: D3E10094 0E52BD2E
	ds_read_b128 v[108:111], v2 offset:8512                    // 0000000038BC: D9FE2140 6C000002
	v_mfma_f32_16x16x16_bf16 v[152:155], a[48:49], v[64:65], v[152:155]// 0000000038C4: D3E10098 0E628130
	v_mfma_f32_16x16x16_bf16 v[152:155], a[50:51], v[66:67], v[152:155]// 0000000038CC: D3E10098 0E628532
	buffer_load_dwordx4 a[176:179], v29, s[20:23], 0 offen     // 0000000038D4: E05C1000 8085B01D
	v_mfma_f32_16x16x16_bf16 v[152:155], a[52:53], v[68:69], v[152:155]// 0000000038DC: D3E10098 0E628934
	v_mfma_f32_16x16x16_bf16 v[152:155], a[54:55], v[70:71], v[152:155]// 0000000038E4: D3E10098 0E628D36
	ds_read_b128 v[112:115], v2 offset:9344                    // 0000000038EC: D9FE2480 70000002
	v_mfma_f32_16x16x16_bf16 v[152:155], a[56:57], v[72:73], v[152:155]// 0000000038F4: D3E10098 0E629138
	v_mfma_f32_16x16x16_bf16 v[152:155], a[58:59], v[74:75], v[152:155]// 0000000038FC: D3E10098 0E62953A
	buffer_load_dwordx4 a[180:183], v29, s[20:23], 0 offen offset:1024// 000000003904: E05C1400 8085B41D
	v_mfma_f32_16x16x16_bf16 v[152:155], a[60:61], v[76:77], v[152:155]// 00000000390C: D3E10098 0E62993C
	v_mfma_f32_16x16x16_bf16 v[152:155], a[62:63], v[78:79], v[152:155]// 000000003914: D3E10098 0E629D3E
	ds_read_b128 v[116:119], v2 offset:9408                    // 00000000391C: D9FE24C0 74000002
	v_mfma_f32_16x16x16_bf16 v[156:159], a[48:49], v[80:81], v[156:159]// 000000003924: D3E1009C 0E72A130
	v_mfma_f32_16x16x16_bf16 v[156:159], a[50:51], v[82:83], v[156:159]// 00000000392C: D3E1009C 0E72A532
	buffer_load_dwordx4 a[184:187], v29, s[20:23], 0 offen offset:2048// 000000003934: E05C1800 8085B81D
	v_mfma_f32_16x16x16_bf16 v[156:159], a[52:53], v[84:85], v[156:159]// 00000000393C: D3E1009C 0E72A934
	v_mfma_f32_16x16x16_bf16 v[156:159], a[54:55], v[86:87], v[156:159]// 000000003944: D3E1009C 0E72AD36
	ds_read_b128 v[120:123], v2 offset:9472                    // 00000000394C: D9FE2500 78000002
	v_mfma_f32_16x16x16_bf16 v[156:159], a[56:57], v[88:89], v[156:159]// 000000003954: D3E1009C 0E72B138
	v_mfma_f32_16x16x16_bf16 v[156:159], a[58:59], v[90:91], v[156:159]// 00000000395C: D3E1009C 0E72B53A
	buffer_load_dwordx4 a[188:191], v29, s[20:23], 0 offen offset:3072// 000000003964: E05C1C00 8085BC1D
	v_mfma_f32_16x16x16_bf16 v[156:159], a[60:61], v[92:93], v[156:159]// 00000000396C: D3E1009C 0E72B93C
	v_mfma_f32_16x16x16_bf16 v[156:159], a[62:63], v[94:95], v[156:159]// 000000003974: D3E1009C 0E72BD3E
	ds_read_b128 v[124:127], v2 offset:9536                    // 00000000397C: D9FE2540 7C000002
	s_waitcnt vmcnt(32)                                        // 000000003984: BF8C8F70
	v_mfma_f32_16x16x16_bf16 v[160:163], a[64:65], v[64:65], v[160:163]// 000000003988: D3E100A0 0E828140
	v_mfma_f32_16x16x16_bf16 v[160:163], a[66:67], v[66:67], v[160:163]// 000000003990: D3E100A0 0E828542
	buffer_load_dwordx4 a[192:195], v30, s[20:23], 0 offen     // 000000003998: E05C1000 8085C01E
	v_mfma_f32_16x16x16_bf16 v[160:163], a[68:69], v[68:69], v[160:163]// 0000000039A0: D3E100A0 0E828944
	s_add_u32 s60, 0x180, s80                                  // 0000000039A8: 803C50FF 00000180
	s_cmp_lt_u32 s60, s81                                      // 0000000039B0: BF0A513C
	s_cselect_b32 s57, s57, 0                                  // 0000000039B4: 85398039
	v_mfma_f32_16x16x16_bf16 v[160:163], a[70:71], v[70:71], v[160:163]// 0000000039B8: D3E100A0 0E828D46
	v_mfma_f32_16x16x16_bf16 v[160:163], a[72:73], v[72:73], v[160:163]// 0000000039C0: D3E100A0 0E829148
	v_mfma_f32_16x16x16_bf16 v[160:163], a[74:75], v[74:75], v[160:163]// 0000000039C8: D3E100A0 0E82954A
	buffer_load_dwordx4 a[196:199], v30, s[20:23], 0 offen offset:1024// 0000000039D0: E05C1400 8085C41E
	v_mfma_f32_16x16x16_bf16 v[160:163], a[76:77], v[76:77], v[160:163]// 0000000039D8: D3E100A0 0E82994C
	s_add_u32 s60, 0x100, s80                                  // 0000000039E0: 803C50FF 00000100
	s_cmp_lt_u32 s60, s81                                      // 0000000039E8: BF0A513C
	s_cselect_b32 s58, s58, 0                                  // 0000000039EC: 853A803A
	v_mfma_f32_16x16x16_bf16 v[160:163], a[78:79], v[78:79], v[160:163]// 0000000039F0: D3E100A0 0E829D4E
	v_mfma_f32_16x16x16_bf16 v[164:167], a[64:65], v[80:81], v[164:167]// 0000000039F8: D3E100A4 0E92A140
	v_mfma_f32_16x16x16_bf16 v[164:167], a[66:67], v[82:83], v[164:167]// 000000003A00: D3E100A4 0E92A542
	buffer_load_dwordx4 a[200:203], v30, s[20:23], 0 offen offset:2048// 000000003A08: E05C1800 8085C81E
	v_mfma_f32_16x16x16_bf16 v[164:167], a[68:69], v[84:85], v[164:167]// 000000003A10: D3E100A4 0E92A944
	s_add_u32 s16, s57, s16                                    // 000000003A18: 80101039
	s_addc_u32 s17, 0, s17                                     // 000000003A1C: 82111180
	v_mfma_f32_16x16x16_bf16 v[164:167], a[70:71], v[86:87], v[164:167]// 000000003A20: D3E100A4 0E92AD46
	v_mfma_f32_16x16x16_bf16 v[164:167], a[72:73], v[88:89], v[164:167]// 000000003A28: D3E100A4 0E92B148
	v_mfma_f32_16x16x16_bf16 v[164:167], a[74:75], v[90:91], v[164:167]// 000000003A30: D3E100A4 0E92B54A
	buffer_load_dwordx4 a[204:207], v30, s[20:23], 0 offen offset:3072// 000000003A38: E05C1C00 8085CC1E
	v_mfma_f32_16x16x16_bf16 v[164:167], a[76:77], v[92:93], v[164:167]// 000000003A40: D3E100A4 0E92B94C
	v_mfma_f32_16x16x16_bf16 v[164:167], a[78:79], v[94:95], v[164:167]// 000000003A48: D3E100A4 0E92BD4E
	v_mfma_f32_16x16x16_bf16 v[168:171], a[80:81], v[64:65], v[168:171]// 000000003A50: D3E100A8 0EA28150
	v_mfma_f32_16x16x16_bf16 v[168:171], a[82:83], v[66:67], v[168:171]// 000000003A58: D3E100A8 0EA28552
	buffer_load_dwordx4 a[208:211], v31, s[20:23], 0 offen     // 000000003A60: E05C1000 8085D01F
	v_mfma_f32_16x16x16_bf16 v[168:171], a[84:85], v[68:69], v[168:171]// 000000003A68: D3E100A8 0EA28954
	v_mfma_f32_16x16x16_bf16 v[168:171], a[86:87], v[70:71], v[168:171]// 000000003A70: D3E100A8 0EA28D56
	v_mfma_f32_16x16x16_bf16 v[168:171], a[88:89], v[72:73], v[168:171]// 000000003A78: D3E100A8 0EA29158
	v_mfma_f32_16x16x16_bf16 v[168:171], a[90:91], v[74:75], v[168:171]// 000000003A80: D3E100A8 0EA2955A
	buffer_load_dwordx4 a[212:215], v31, s[20:23], 0 offen offset:1024// 000000003A88: E05C1400 8085D41F
	v_mfma_f32_16x16x16_bf16 v[168:171], a[92:93], v[76:77], v[168:171]// 000000003A90: D3E100A8 0EA2995C
	v_mfma_f32_16x16x16_bf16 v[168:171], a[94:95], v[78:79], v[168:171]// 000000003A98: D3E100A8 0EA29D5E
	v_mfma_f32_16x16x16_bf16 v[172:175], a[80:81], v[80:81], v[172:175]// 000000003AA0: D3E100AC 0EB2A150
	v_mfma_f32_16x16x16_bf16 v[172:175], a[82:83], v[82:83], v[172:175]// 000000003AA8: D3E100AC 0EB2A552
	buffer_load_dwordx4 a[216:219], v31, s[20:23], 0 offen offset:2048// 000000003AB0: E05C1800 8085D81F
	v_mfma_f32_16x16x16_bf16 v[172:175], a[84:85], v[84:85], v[172:175]// 000000003AB8: D3E100AC 0EB2A954
	v_mfma_f32_16x16x16_bf16 v[172:175], a[86:87], v[86:87], v[172:175]// 000000003AC0: D3E100AC 0EB2AD56
	v_mfma_f32_16x16x16_bf16 v[172:175], a[88:89], v[88:89], v[172:175]// 000000003AC8: D3E100AC 0EB2B158
	v_mfma_f32_16x16x16_bf16 v[172:175], a[90:91], v[90:91], v[172:175]// 000000003AD0: D3E100AC 0EB2B55A
	buffer_load_dwordx4 a[220:223], v31, s[20:23], 0 offen offset:3072// 000000003AD8: E05C1C00 8085DC1F
	v_mfma_f32_16x16x16_bf16 v[172:175], a[92:93], v[92:93], v[172:175]// 000000003AE0: D3E100AC 0EB2B95C
	v_mfma_f32_16x16x16_bf16 v[172:175], a[94:95], v[94:95], v[172:175]// 000000003AE8: D3E100AC 0EB2BD5E
	s_waitcnt vmcnt(32)                                        // 000000003AF0: BF8C8F70
	v_mfma_f32_16x16x16_bf16 v[176:179], a[96:97], v[64:65], v[176:179]// 000000003AF4: D3E100B0 0EC28160
	v_mfma_f32_16x16x16_bf16 v[176:179], a[98:99], v[66:67], v[176:179]// 000000003AFC: D3E100B0 0EC28562
	buffer_load_dwordx4 a[224:227], v32, s[20:23], 0 offen     // 000000003B04: E05C1000 8085E020
	v_mfma_f32_16x16x16_bf16 v[176:179], a[100:101], v[68:69], v[176:179]// 000000003B0C: D3E100B0 0EC28964
	v_mfma_f32_16x16x16_bf16 v[176:179], a[102:103], v[70:71], v[176:179]// 000000003B14: D3E100B0 0EC28D66
	v_mfma_f32_16x16x16_bf16 v[176:179], a[104:105], v[72:73], v[176:179]// 000000003B1C: D3E100B0 0EC29168
	v_mfma_f32_16x16x16_bf16 v[176:179], a[106:107], v[74:75], v[176:179]// 000000003B24: D3E100B0 0EC2956A
	buffer_load_dwordx4 a[228:231], v32, s[20:23], 0 offen offset:1024// 000000003B2C: E05C1400 8085E420
	v_mfma_f32_16x16x16_bf16 v[176:179], a[108:109], v[76:77], v[176:179]// 000000003B34: D3E100B0 0EC2996C
	v_mfma_f32_16x16x16_bf16 v[176:179], a[110:111], v[78:79], v[176:179]// 000000003B3C: D3E100B0 0EC29D6E
	v_mfma_f32_16x16x16_bf16 v[180:183], a[96:97], v[80:81], v[180:183]// 000000003B44: D3E100B4 0ED2A160
	v_mfma_f32_16x16x16_bf16 v[180:183], a[98:99], v[82:83], v[180:183]// 000000003B4C: D3E100B4 0ED2A562
	buffer_load_dwordx4 a[232:235], v32, s[20:23], 0 offen offset:2048// 000000003B54: E05C1800 8085E820
	v_mfma_f32_16x16x16_bf16 v[180:183], a[100:101], v[84:85], v[180:183]// 000000003B5C: D3E100B4 0ED2A964
	v_mfma_f32_16x16x16_bf16 v[180:183], a[102:103], v[86:87], v[180:183]// 000000003B64: D3E100B4 0ED2AD66
	v_mfma_f32_16x16x16_bf16 v[180:183], a[104:105], v[88:89], v[180:183]// 000000003B6C: D3E100B4 0ED2B168
	v_mfma_f32_16x16x16_bf16 v[180:183], a[106:107], v[90:91], v[180:183]// 000000003B74: D3E100B4 0ED2B56A
	buffer_load_dwordx4 a[236:239], v32, s[20:23], 0 offen offset:3072// 000000003B7C: E05C1C00 8085EC20
	v_mfma_f32_16x16x16_bf16 v[180:183], a[108:109], v[92:93], v[180:183]// 000000003B84: D3E100B4 0ED2B96C
	v_mfma_f32_16x16x16_bf16 v[180:183], a[110:111], v[94:95], v[180:183]// 000000003B8C: D3E100B4 0ED2BD6E
	v_mfma_f32_16x16x16_bf16 v[184:187], a[112:113], v[64:65], v[184:187]// 000000003B94: D3E100B8 0EE28170
	v_mfma_f32_16x16x16_bf16 v[184:187], a[114:115], v[66:67], v[184:187]// 000000003B9C: D3E100B8 0EE28572
	buffer_load_dwordx4 a[240:243], v33, s[20:23], 0 offen     // 000000003BA4: E05C1000 8085F021
	v_mfma_f32_16x16x16_bf16 v[184:187], a[116:117], v[68:69], v[184:187]// 000000003BAC: D3E100B8 0EE28974
	v_mfma_f32_16x16x16_bf16 v[184:187], a[118:119], v[70:71], v[184:187]// 000000003BB4: D3E100B8 0EE28D76
	v_mfma_f32_16x16x16_bf16 v[184:187], a[120:121], v[72:73], v[184:187]// 000000003BBC: D3E100B8 0EE29178
	v_mfma_f32_16x16x16_bf16 v[184:187], a[122:123], v[74:75], v[184:187]// 000000003BC4: D3E100B8 0EE2957A
	buffer_load_dwordx4 a[244:247], v33, s[20:23], 0 offen offset:1024// 000000003BCC: E05C1400 8085F421
	v_mfma_f32_16x16x16_bf16 v[184:187], a[124:125], v[76:77], v[184:187]// 000000003BD4: D3E100B8 0EE2997C
	v_mfma_f32_16x16x16_bf16 v[184:187], a[126:127], v[78:79], v[184:187]// 000000003BDC: D3E100B8 0EE29D7E
	v_mfma_f32_16x16x16_bf16 v[188:191], a[112:113], v[80:81], v[188:191]// 000000003BE4: D3E100BC 0EF2A170
	v_mfma_f32_16x16x16_bf16 v[188:191], a[114:115], v[82:83], v[188:191]// 000000003BEC: D3E100BC 0EF2A572
	buffer_load_dwordx4 a[248:251], v33, s[20:23], 0 offen offset:2048// 000000003BF4: E05C1800 8085F821
	v_mfma_f32_16x16x16_bf16 v[188:191], a[116:117], v[84:85], v[188:191]// 000000003BFC: D3E100BC 0EF2A974
	v_mfma_f32_16x16x16_bf16 v[188:191], a[118:119], v[86:87], v[188:191]// 000000003C04: D3E100BC 0EF2AD76
	v_mfma_f32_16x16x16_bf16 v[188:191], a[120:121], v[88:89], v[188:191]// 000000003C0C: D3E100BC 0EF2B178
	v_mfma_f32_16x16x16_bf16 v[188:191], a[122:123], v[90:91], v[188:191]// 000000003C14: D3E100BC 0EF2B57A
	buffer_load_dwordx4 a[252:255], v33, s[20:23], 0 offen offset:3072// 000000003C1C: E05C1C00 8085FC21
	v_mfma_f32_16x16x16_bf16 v[188:191], a[124:125], v[92:93], v[188:191]// 000000003C24: D3E100BC 0EF2B97C
	s_add_u32 s20, s58, s20                                    // 000000003C2C: 8014143A
	s_addc_u32 s21, 0, s21                                     // 000000003C30: 82151580
	v_mfma_f32_16x16x16_bf16 v[188:191], a[126:127], v[94:95], v[188:191]// 000000003C34: D3E100BC 0EF2BD7E
	s_addk_i32 s80, 0x80                                       // 000000003C3C: B7500080
	s_cmp_lt_i32 s80, s81                                      // 000000003C40: BF045150
	s_cbranch_scc0 label_0516                                  // 000000003C44: BF840184
	s_waitcnt vmcnt(24) lgkmcnt(0)                             // 000000003C48: BF8C4078
	s_barrier                                                  // 000000003C4C: BF8A0000
	v_mfma_f32_16x16x16_bf16 v[128:131], a[128:129], v[96:97], v[128:131]// 000000003C50: D3E10080 0E02C180
	v_mfma_f32_16x16x16_bf16 v[128:131], a[130:131], v[98:99], v[128:131]// 000000003C58: D3E10080 0E02C582
	buffer_load_dwordx4 a[0:3], v26, s[20:23], 0 offen         // 000000003C60: E05C1000 8085001A
	v_mfma_f32_16x16x16_bf16 v[128:131], a[132:133], v[100:101], v[128:131]// 000000003C68: D3E10080 0E02C984
	v_mfma_f32_16x16x16_bf16 v[128:131], a[134:135], v[102:103], v[128:131]// 000000003C70: D3E10080 0E02CD86
	buffer_load_dword v10, s[16:19], 0 offen lds               // 000000003C78: E0511000 8004000A
	s_add_u32 m0, 0x100, s37                                   // 000000003C80: 807C25FF 00000100
	v_mfma_f32_16x16x16_bf16 v[128:131], a[136:137], v[104:105], v[128:131]// 000000003C88: D3E10080 0E02D188
	v_mfma_f32_16x16x16_bf16 v[128:131], a[138:139], v[106:107], v[128:131]// 000000003C90: D3E10080 0E02D58A
	buffer_load_dwordx4 a[4:7], v26, s[20:23], 0 offen offset:1024// 000000003C98: E05C1400 8085041A
	v_mfma_f32_16x16x16_bf16 v[128:131], a[140:141], v[108:109], v[128:131]// 000000003CA0: D3E10080 0E02D98C
	v_mfma_f32_16x16x16_bf16 v[128:131], a[142:143], v[110:111], v[128:131]// 000000003CA8: D3E10080 0E02DD8E
	buffer_load_dword v11, s[16:19], 0 offen lds               // 000000003CB0: E0511000 8004000B
	s_add_u32 m0, 0x200, s37                                   // 000000003CB8: 807C25FF 00000200
	v_mfma_f32_16x16x16_bf16 v[132:135], a[128:129], v[112:113], v[132:135]// 000000003CC0: D3E10084 0E12E180
	v_mfma_f32_16x16x16_bf16 v[132:135], a[130:131], v[114:115], v[132:135]// 000000003CC8: D3E10084 0E12E582
	buffer_load_dwordx4 a[8:11], v26, s[20:23], 0 offen offset:2048// 000000003CD0: E05C1800 8085081A
	v_mfma_f32_16x16x16_bf16 v[132:135], a[132:133], v[116:117], v[132:135]// 000000003CD8: D3E10084 0E12E984
	v_mfma_f32_16x16x16_bf16 v[132:135], a[134:135], v[118:119], v[132:135]// 000000003CE0: D3E10084 0E12ED86
	buffer_load_dword v12, s[16:19], 0 offen lds               // 000000003CE8: E0511000 8004000C
	s_add_u32 m0, 0x300, s37                                   // 000000003CF0: 807C25FF 00000300
	v_mfma_f32_16x16x16_bf16 v[132:135], a[136:137], v[120:121], v[132:135]// 000000003CF8: D3E10084 0E12F188
	v_mfma_f32_16x16x16_bf16 v[132:135], a[138:139], v[122:123], v[132:135]// 000000003D00: D3E10084 0E12F58A
	buffer_load_dwordx4 a[12:15], v26, s[20:23], 0 offen offset:3072// 000000003D08: E05C1C00 80850C1A
	v_mfma_f32_16x16x16_bf16 v[132:135], a[140:141], v[124:125], v[132:135]// 000000003D10: D3E10084 0E12F98C
	v_mfma_f32_16x16x16_bf16 v[132:135], a[142:143], v[126:127], v[132:135]// 000000003D18: D3E10084 0E12FD8E
	buffer_load_dword v13, s[16:19], 0 offen lds               // 000000003D20: E0511000 8004000D
	s_add_u32 m0, 0x400, s37                                   // 000000003D28: 807C25FF 00000400
	v_mfma_f32_16x16x16_bf16 v[136:139], a[144:145], v[96:97], v[136:139]// 000000003D30: D3E10088 0E22C190
	v_mfma_f32_16x16x16_bf16 v[136:139], a[146:147], v[98:99], v[136:139]// 000000003D38: D3E10088 0E22C592
	buffer_load_dwordx4 a[16:19], v27, s[20:23], 0 offen       // 000000003D40: E05C1000 8085101B
	v_mfma_f32_16x16x16_bf16 v[136:139], a[148:149], v[100:101], v[136:139]// 000000003D48: D3E10088 0E22C994
	v_mfma_f32_16x16x16_bf16 v[136:139], a[150:151], v[102:103], v[136:139]// 000000003D50: D3E10088 0E22CD96
	buffer_load_dword v14, s[16:19], 0 offen lds               // 000000003D58: E0511000 8004000E
	s_add_u32 m0, 0x500, s37                                   // 000000003D60: 807C25FF 00000500
	v_mfma_f32_16x16x16_bf16 v[136:139], a[152:153], v[104:105], v[136:139]// 000000003D68: D3E10088 0E22D198
	v_mfma_f32_16x16x16_bf16 v[136:139], a[154:155], v[106:107], v[136:139]// 000000003D70: D3E10088 0E22D59A
	buffer_load_dwordx4 a[20:23], v27, s[20:23], 0 offen offset:1024// 000000003D78: E05C1400 8085141B
	v_mfma_f32_16x16x16_bf16 v[136:139], a[156:157], v[108:109], v[136:139]// 000000003D80: D3E10088 0E22D99C
	v_mfma_f32_16x16x16_bf16 v[136:139], a[158:159], v[110:111], v[136:139]// 000000003D88: D3E10088 0E22DD9E
	buffer_load_dword v15, s[16:19], 0 offen lds               // 000000003D90: E0511000 8004000F
	s_add_u32 m0, 0x600, s37                                   // 000000003D98: 807C25FF 00000600
	v_mfma_f32_16x16x16_bf16 v[140:143], a[144:145], v[112:113], v[140:143]// 000000003DA0: D3E1008C 0E32E190
	v_mfma_f32_16x16x16_bf16 v[140:143], a[146:147], v[114:115], v[140:143]// 000000003DA8: D3E1008C 0E32E592
	buffer_load_dwordx4 a[24:27], v27, s[20:23], 0 offen offset:2048// 000000003DB0: E05C1800 8085181B
	v_mfma_f32_16x16x16_bf16 v[140:143], a[148:149], v[116:117], v[140:143]// 000000003DB8: D3E1008C 0E32E994
	v_mfma_f32_16x16x16_bf16 v[140:143], a[150:151], v[118:119], v[140:143]// 000000003DC0: D3E1008C 0E32ED96
	buffer_load_dword v16, s[16:19], 0 offen lds               // 000000003DC8: E0511000 80040010
	s_add_u32 m0, 0x700, s37                                   // 000000003DD0: 807C25FF 00000700
	v_mfma_f32_16x16x16_bf16 v[140:143], a[152:153], v[120:121], v[140:143]// 000000003DD8: D3E1008C 0E32F198
	v_mfma_f32_16x16x16_bf16 v[140:143], a[154:155], v[122:123], v[140:143]// 000000003DE0: D3E1008C 0E32F59A
	buffer_load_dwordx4 a[28:31], v27, s[20:23], 0 offen offset:3072// 000000003DE8: E05C1C00 80851C1B
	v_mfma_f32_16x16x16_bf16 v[140:143], a[156:157], v[124:125], v[140:143]// 000000003DF0: D3E1008C 0E32F99C
	v_mfma_f32_16x16x16_bf16 v[140:143], a[158:159], v[126:127], v[140:143]// 000000003DF8: D3E1008C 0E32FD9E
	buffer_load_dword v17, s[16:19], 0 offen lds               // 000000003E00: E0511000 80040011
	s_add_u32 m0, 0, s36                                       // 000000003E08: 807C2480
	s_waitcnt vmcnt(32)                                        // 000000003E0C: BF8C8F70
	v_mfma_f32_16x16x16_bf16 v[144:147], a[160:161], v[96:97], v[144:147]// 000000003E10: D3E10090 0E42C1A0
	v_mfma_f32_16x16x16_bf16 v[144:147], a[162:163], v[98:99], v[144:147]// 000000003E18: D3E10090 0E42C5A2
	buffer_load_dwordx4 a[32:35], v28, s[20:23], 0 offen       // 000000003E20: E05C1000 8085201C
	v_mfma_f32_16x16x16_bf16 v[144:147], a[164:165], v[100:101], v[144:147]// 000000003E28: D3E10090 0E42C9A4
	v_mfma_f32_16x16x16_bf16 v[144:147], a[166:167], v[102:103], v[144:147]// 000000003E30: D3E10090 0E42CDA6
	ds_read_b128 v[64:67], v2                                  // 000000003E38: D9FE0000 40000002
	v_mfma_f32_16x16x16_bf16 v[144:147], a[168:169], v[104:105], v[144:147]// 000000003E40: D3E10090 0E42D1A8
	v_mfma_f32_16x16x16_bf16 v[144:147], a[170:171], v[106:107], v[144:147]// 000000003E48: D3E10090 0E42D5AA
	buffer_load_dwordx4 a[36:39], v28, s[20:23], 0 offen offset:1024// 000000003E50: E05C1400 8085241C
	v_mfma_f32_16x16x16_bf16 v[144:147], a[172:173], v[108:109], v[144:147]// 000000003E58: D3E10090 0E42D9AC
	v_mfma_f32_16x16x16_bf16 v[144:147], a[174:175], v[110:111], v[144:147]// 000000003E60: D3E10090 0E42DDAE
	ds_read_b128 v[68:71], v2 offset:64                        // 000000003E68: D9FE0040 44000002
	v_mfma_f32_16x16x16_bf16 v[148:151], a[160:161], v[112:113], v[148:151]// 000000003E70: D3E10094 0E52E1A0
	v_mfma_f32_16x16x16_bf16 v[148:151], a[162:163], v[114:115], v[148:151]// 000000003E78: D3E10094 0E52E5A2
	buffer_load_dwordx4 a[40:43], v28, s[20:23], 0 offen offset:2048// 000000003E80: E05C1800 8085281C
	v_mfma_f32_16x16x16_bf16 v[148:151], a[164:165], v[116:117], v[148:151]// 000000003E88: D3E10094 0E52E9A4
	v_mfma_f32_16x16x16_bf16 v[148:151], a[166:167], v[118:119], v[148:151]// 000000003E90: D3E10094 0E52EDA6
	ds_read_b128 v[72:75], v2 offset:128                       // 000000003E98: D9FE0080 48000002
	v_mfma_f32_16x16x16_bf16 v[148:151], a[168:169], v[120:121], v[148:151]// 000000003EA0: D3E10094 0E52F1A8
	v_mfma_f32_16x16x16_bf16 v[148:151], a[170:171], v[122:123], v[148:151]// 000000003EA8: D3E10094 0E52F5AA
	buffer_load_dwordx4 a[44:47], v28, s[20:23], 0 offen offset:3072// 000000003EB0: E05C1C00 80852C1C
	v_mfma_f32_16x16x16_bf16 v[148:151], a[172:173], v[124:125], v[148:151]// 000000003EB8: D3E10094 0E52F9AC
	v_mfma_f32_16x16x16_bf16 v[148:151], a[174:175], v[126:127], v[148:151]// 000000003EC0: D3E10094 0E52FDAE
	ds_read_b128 v[76:79], v2 offset:192                       // 000000003EC8: D9FE00C0 4C000002
	v_mfma_f32_16x16x16_bf16 v[152:155], a[176:177], v[96:97], v[152:155]// 000000003ED0: D3E10098 0E62C1B0
	v_mfma_f32_16x16x16_bf16 v[152:155], a[178:179], v[98:99], v[152:155]// 000000003ED8: D3E10098 0E62C5B2
	buffer_load_dwordx4 a[48:51], v29, s[20:23], 0 offen       // 000000003EE0: E05C1000 8085301D
	v_mfma_f32_16x16x16_bf16 v[152:155], a[180:181], v[100:101], v[152:155]// 000000003EE8: D3E10098 0E62C9B4
	v_mfma_f32_16x16x16_bf16 v[152:155], a[182:183], v[102:103], v[152:155]// 000000003EF0: D3E10098 0E62CDB6
	ds_read_b128 v[80:83], v2 offset:1024                      // 000000003EF8: D9FE0400 50000002
	v_mfma_f32_16x16x16_bf16 v[152:155], a[184:185], v[104:105], v[152:155]// 000000003F00: D3E10098 0E62D1B8
	v_mfma_f32_16x16x16_bf16 v[152:155], a[186:187], v[106:107], v[152:155]// 000000003F08: D3E10098 0E62D5BA
	buffer_load_dwordx4 a[52:55], v29, s[20:23], 0 offen offset:1024// 000000003F10: E05C1400 8085341D
	v_mfma_f32_16x16x16_bf16 v[152:155], a[188:189], v[108:109], v[152:155]// 000000003F18: D3E10098 0E62D9BC
	v_mfma_f32_16x16x16_bf16 v[152:155], a[190:191], v[110:111], v[152:155]// 000000003F20: D3E10098 0E62DDBE
	ds_read_b128 v[84:87], v2 offset:1088                      // 000000003F28: D9FE0440 54000002
	v_mfma_f32_16x16x16_bf16 v[156:159], a[176:177], v[112:113], v[156:159]// 000000003F30: D3E1009C 0E72E1B0
	v_mfma_f32_16x16x16_bf16 v[156:159], a[178:179], v[114:115], v[156:159]// 000000003F38: D3E1009C 0E72E5B2
	buffer_load_dwordx4 a[56:59], v29, s[20:23], 0 offen offset:2048// 000000003F40: E05C1800 8085381D
	v_mfma_f32_16x16x16_bf16 v[156:159], a[180:181], v[116:117], v[156:159]// 000000003F48: D3E1009C 0E72E9B4
	v_mfma_f32_16x16x16_bf16 v[156:159], a[182:183], v[118:119], v[156:159]// 000000003F50: D3E1009C 0E72EDB6
	ds_read_b128 v[88:91], v2 offset:1152                      // 000000003F58: D9FE0480 58000002
	v_mfma_f32_16x16x16_bf16 v[156:159], a[184:185], v[120:121], v[156:159]// 000000003F60: D3E1009C 0E72F1B8
	v_mfma_f32_16x16x16_bf16 v[156:159], a[186:187], v[122:123], v[156:159]// 000000003F68: D3E1009C 0E72F5BA
	buffer_load_dwordx4 a[60:63], v29, s[20:23], 0 offen offset:3072// 000000003F70: E05C1C00 80853C1D
	v_mfma_f32_16x16x16_bf16 v[156:159], a[188:189], v[124:125], v[156:159]// 000000003F78: D3E1009C 0E72F9BC
	v_mfma_f32_16x16x16_bf16 v[156:159], a[190:191], v[126:127], v[156:159]// 000000003F80: D3E1009C 0E72FDBE
	ds_read_b128 v[92:95], v2 offset:1216                      // 000000003F88: D9FE04C0 5C000002
	s_waitcnt vmcnt(32)                                        // 000000003F90: BF8C8F70
	v_mfma_f32_16x16x16_bf16 v[160:163], a[192:193], v[96:97], v[160:163]// 000000003F94: D3E100A0 0E82C1C0
	v_mfma_f32_16x16x16_bf16 v[160:163], a[194:195], v[98:99], v[160:163]// 000000003F9C: D3E100A0 0E82C5C2
	buffer_load_dwordx4 a[64:67], v30, s[20:23], 0 offen       // 000000003FA4: E05C1000 8085401E
	v_mfma_f32_16x16x16_bf16 v[160:163], a[196:197], v[100:101], v[160:163]// 000000003FAC: D3E100A0 0E82C9C4
	s_add_u32 s60, 0x180, s80                                  // 000000003FB4: 803C50FF 00000180
	s_cmp_lt_u32 s60, s81                                      // 000000003FBC: BF0A513C
	s_cselect_b32 s57, s57, 0                                  // 000000003FC0: 85398039
	v_mfma_f32_16x16x16_bf16 v[160:163], a[198:199], v[102:103], v[160:163]// 000000003FC4: D3E100A0 0E82CDC6
	v_mfma_f32_16x16x16_bf16 v[160:163], a[200:201], v[104:105], v[160:163]// 000000003FCC: D3E100A0 0E82D1C8
	v_mfma_f32_16x16x16_bf16 v[160:163], a[202:203], v[106:107], v[160:163]// 000000003FD4: D3E100A0 0E82D5CA
	buffer_load_dwordx4 a[68:71], v30, s[20:23], 0 offen offset:1024// 000000003FDC: E05C1400 8085441E
	v_mfma_f32_16x16x16_bf16 v[160:163], a[204:205], v[108:109], v[160:163]// 000000003FE4: D3E100A0 0E82D9CC
	s_add_u32 s60, 0x100, s80                                  // 000000003FEC: 803C50FF 00000100
	s_cmp_lt_u32 s60, s81                                      // 000000003FF4: BF0A513C
	s_cselect_b32 s58, s58, 0                                  // 000000003FF8: 853A803A
	v_mfma_f32_16x16x16_bf16 v[160:163], a[206:207], v[110:111], v[160:163]// 000000003FFC: D3E100A0 0E82DDCE
	v_mfma_f32_16x16x16_bf16 v[164:167], a[192:193], v[112:113], v[164:167]// 000000004004: D3E100A4 0E92E1C0
	v_mfma_f32_16x16x16_bf16 v[164:167], a[194:195], v[114:115], v[164:167]// 00000000400C: D3E100A4 0E92E5C2
	buffer_load_dwordx4 a[72:75], v30, s[20:23], 0 offen offset:2048// 000000004014: E05C1800 8085481E
	v_mfma_f32_16x16x16_bf16 v[164:167], a[196:197], v[116:117], v[164:167]// 00000000401C: D3E100A4 0E92E9C4
	s_add_u32 s16, s57, s16                                    // 000000004024: 80101039
	s_addc_u32 s17, 0, s17                                     // 000000004028: 82111180
	v_mfma_f32_16x16x16_bf16 v[164:167], a[198:199], v[118:119], v[164:167]// 00000000402C: D3E100A4 0E92EDC6
	v_mfma_f32_16x16x16_bf16 v[164:167], a[200:201], v[120:121], v[164:167]// 000000004034: D3E100A4 0E92F1C8
	v_mfma_f32_16x16x16_bf16 v[164:167], a[202:203], v[122:123], v[164:167]// 00000000403C: D3E100A4 0E92F5CA
	buffer_load_dwordx4 a[76:79], v30, s[20:23], 0 offen offset:3072// 000000004044: E05C1C00 80854C1E
	v_mfma_f32_16x16x16_bf16 v[164:167], a[204:205], v[124:125], v[164:167]// 00000000404C: D3E100A4 0E92F9CC
	v_mfma_f32_16x16x16_bf16 v[164:167], a[206:207], v[126:127], v[164:167]// 000000004054: D3E100A4 0E92FDCE
	v_mfma_f32_16x16x16_bf16 v[168:171], a[208:209], v[96:97], v[168:171]// 00000000405C: D3E100A8 0EA2C1D0
	v_mfma_f32_16x16x16_bf16 v[168:171], a[210:211], v[98:99], v[168:171]// 000000004064: D3E100A8 0EA2C5D2
	buffer_load_dwordx4 a[80:83], v31, s[20:23], 0 offen       // 00000000406C: E05C1000 8085501F
	v_mfma_f32_16x16x16_bf16 v[168:171], a[212:213], v[100:101], v[168:171]// 000000004074: D3E100A8 0EA2C9D4
	v_mfma_f32_16x16x16_bf16 v[168:171], a[214:215], v[102:103], v[168:171]// 00000000407C: D3E100A8 0EA2CDD6
	v_mfma_f32_16x16x16_bf16 v[168:171], a[216:217], v[104:105], v[168:171]// 000000004084: D3E100A8 0EA2D1D8
	v_mfma_f32_16x16x16_bf16 v[168:171], a[218:219], v[106:107], v[168:171]// 00000000408C: D3E100A8 0EA2D5DA
	buffer_load_dwordx4 a[84:87], v31, s[20:23], 0 offen offset:1024// 000000004094: E05C1400 8085541F
	v_mfma_f32_16x16x16_bf16 v[168:171], a[220:221], v[108:109], v[168:171]// 00000000409C: D3E100A8 0EA2D9DC
	v_mfma_f32_16x16x16_bf16 v[168:171], a[222:223], v[110:111], v[168:171]// 0000000040A4: D3E100A8 0EA2DDDE
	v_mfma_f32_16x16x16_bf16 v[172:175], a[208:209], v[112:113], v[172:175]// 0000000040AC: D3E100AC 0EB2E1D0
	v_mfma_f32_16x16x16_bf16 v[172:175], a[210:211], v[114:115], v[172:175]// 0000000040B4: D3E100AC 0EB2E5D2
	buffer_load_dwordx4 a[88:91], v31, s[20:23], 0 offen offset:2048// 0000000040BC: E05C1800 8085581F
	v_mfma_f32_16x16x16_bf16 v[172:175], a[212:213], v[116:117], v[172:175]// 0000000040C4: D3E100AC 0EB2E9D4
	v_mfma_f32_16x16x16_bf16 v[172:175], a[214:215], v[118:119], v[172:175]// 0000000040CC: D3E100AC 0EB2EDD6
	v_mfma_f32_16x16x16_bf16 v[172:175], a[216:217], v[120:121], v[172:175]// 0000000040D4: D3E100AC 0EB2F1D8
	v_mfma_f32_16x16x16_bf16 v[172:175], a[218:219], v[122:123], v[172:175]// 0000000040DC: D3E100AC 0EB2F5DA
	buffer_load_dwordx4 a[92:95], v31, s[20:23], 0 offen offset:3072// 0000000040E4: E05C1C00 80855C1F
	v_mfma_f32_16x16x16_bf16 v[172:175], a[220:221], v[124:125], v[172:175]// 0000000040EC: D3E100AC 0EB2F9DC
	v_mfma_f32_16x16x16_bf16 v[172:175], a[222:223], v[126:127], v[172:175]// 0000000040F4: D3E100AC 0EB2FDDE
	s_waitcnt vmcnt(32)                                        // 0000000040FC: BF8C8F70
	v_mfma_f32_16x16x16_bf16 v[176:179], a[224:225], v[96:97], v[176:179]// 000000004100: D3E100B0 0EC2C1E0
	v_mfma_f32_16x16x16_bf16 v[176:179], a[226:227], v[98:99], v[176:179]// 000000004108: D3E100B0 0EC2C5E2
	buffer_load_dwordx4 a[96:99], v32, s[20:23], 0 offen       // 000000004110: E05C1000 80856020
	v_mfma_f32_16x16x16_bf16 v[176:179], a[228:229], v[100:101], v[176:179]// 000000004118: D3E100B0 0EC2C9E4
	v_mfma_f32_16x16x16_bf16 v[176:179], a[230:231], v[102:103], v[176:179]// 000000004120: D3E100B0 0EC2CDE6
	v_mfma_f32_16x16x16_bf16 v[176:179], a[232:233], v[104:105], v[176:179]// 000000004128: D3E100B0 0EC2D1E8
	v_mfma_f32_16x16x16_bf16 v[176:179], a[234:235], v[106:107], v[176:179]// 000000004130: D3E100B0 0EC2D5EA
	buffer_load_dwordx4 a[100:103], v32, s[20:23], 0 offen offset:1024// 000000004138: E05C1400 80856420
	v_mfma_f32_16x16x16_bf16 v[176:179], a[236:237], v[108:109], v[176:179]// 000000004140: D3E100B0 0EC2D9EC
	v_mfma_f32_16x16x16_bf16 v[176:179], a[238:239], v[110:111], v[176:179]// 000000004148: D3E100B0 0EC2DDEE
	v_mfma_f32_16x16x16_bf16 v[180:183], a[224:225], v[112:113], v[180:183]// 000000004150: D3E100B4 0ED2E1E0
	v_mfma_f32_16x16x16_bf16 v[180:183], a[226:227], v[114:115], v[180:183]// 000000004158: D3E100B4 0ED2E5E2
	buffer_load_dwordx4 a[104:107], v32, s[20:23], 0 offen offset:2048// 000000004160: E05C1800 80856820
	v_mfma_f32_16x16x16_bf16 v[180:183], a[228:229], v[116:117], v[180:183]// 000000004168: D3E100B4 0ED2E9E4
	v_mfma_f32_16x16x16_bf16 v[180:183], a[230:231], v[118:119], v[180:183]// 000000004170: D3E100B4 0ED2EDE6
	v_mfma_f32_16x16x16_bf16 v[180:183], a[232:233], v[120:121], v[180:183]// 000000004178: D3E100B4 0ED2F1E8
	v_mfma_f32_16x16x16_bf16 v[180:183], a[234:235], v[122:123], v[180:183]// 000000004180: D3E100B4 0ED2F5EA
	buffer_load_dwordx4 a[108:111], v32, s[20:23], 0 offen offset:3072// 000000004188: E05C1C00 80856C20
	v_mfma_f32_16x16x16_bf16 v[180:183], a[236:237], v[124:125], v[180:183]// 000000004190: D3E100B4 0ED2F9EC
	v_mfma_f32_16x16x16_bf16 v[180:183], a[238:239], v[126:127], v[180:183]// 000000004198: D3E100B4 0ED2FDEE
	v_mfma_f32_16x16x16_bf16 v[184:187], a[240:241], v[96:97], v[184:187]// 0000000041A0: D3E100B8 0EE2C1F0
	v_mfma_f32_16x16x16_bf16 v[184:187], a[242:243], v[98:99], v[184:187]// 0000000041A8: D3E100B8 0EE2C5F2
	buffer_load_dwordx4 a[112:115], v33, s[20:23], 0 offen     // 0000000041B0: E05C1000 80857021
	v_mfma_f32_16x16x16_bf16 v[184:187], a[244:245], v[100:101], v[184:187]// 0000000041B8: D3E100B8 0EE2C9F4
	v_mfma_f32_16x16x16_bf16 v[184:187], a[246:247], v[102:103], v[184:187]// 0000000041C0: D3E100B8 0EE2CDF6
	v_mfma_f32_16x16x16_bf16 v[184:187], a[248:249], v[104:105], v[184:187]// 0000000041C8: D3E100B8 0EE2D1F8
	v_mfma_f32_16x16x16_bf16 v[184:187], a[250:251], v[106:107], v[184:187]// 0000000041D0: D3E100B8 0EE2D5FA
	buffer_load_dwordx4 a[116:119], v33, s[20:23], 0 offen offset:1024// 0000000041D8: E05C1400 80857421
	v_mfma_f32_16x16x16_bf16 v[184:187], a[252:253], v[108:109], v[184:187]// 0000000041E0: D3E100B8 0EE2D9FC
	v_mfma_f32_16x16x16_bf16 v[184:187], a[254:255], v[110:111], v[184:187]// 0000000041E8: D3E100B8 0EE2DDFE
	v_mfma_f32_16x16x16_bf16 v[188:191], a[240:241], v[112:113], v[188:191]// 0000000041F0: D3E100BC 0EF2E1F0
	v_mfma_f32_16x16x16_bf16 v[188:191], a[242:243], v[114:115], v[188:191]// 0000000041F8: D3E100BC 0EF2E5F2
	buffer_load_dwordx4 a[120:123], v33, s[20:23], 0 offen offset:2048// 000000004200: E05C1800 80857821
	v_mfma_f32_16x16x16_bf16 v[188:191], a[244:245], v[116:117], v[188:191]// 000000004208: D3E100BC 0EF2E9F4
	v_mfma_f32_16x16x16_bf16 v[188:191], a[246:247], v[118:119], v[188:191]// 000000004210: D3E100BC 0EF2EDF6
	v_mfma_f32_16x16x16_bf16 v[188:191], a[248:249], v[120:121], v[188:191]// 000000004218: D3E100BC 0EF2F1F8
	v_mfma_f32_16x16x16_bf16 v[188:191], a[250:251], v[122:123], v[188:191]// 000000004220: D3E100BC 0EF2F5FA
	buffer_load_dwordx4 a[124:127], v33, s[20:23], 0 offen offset:3072// 000000004228: E05C1C00 80857C21
	v_mfma_f32_16x16x16_bf16 v[188:191], a[252:253], v[124:125], v[188:191]// 000000004230: D3E100BC 0EF2F9FC
	s_add_u32 s20, s58, s20                                    // 000000004238: 8014143A
	s_addc_u32 s21, 0, s21                                     // 00000000423C: 82151580
	v_mfma_f32_16x16x16_bf16 v[188:191], a[254:255], v[126:127], v[188:191]// 000000004240: D3E100BC 0EF2FDFE
	s_addk_i32 s80, 0x80                                       // 000000004248: B7500080
	s_cmp_lt_i32 s80, s81                                      // 00000000424C: BF045150
	s_cbranch_scc0 label_0516                                  // 000000004250: BF840001
	s_branch label_020F                                        // 000000004254: BF82FCF9

0000000000004258 <label_0516>:
	s_mov_b32 s38, -1                                          // 000000004258: BEA600C1
	s_mov_b32 s39, -1                                          // 00000000425C: BEA700C1
	s_mov_b64 s[60:61], 0                                      // 000000004260: BEBC0180
	s_cmp_lt_u32 s82, s66                                      // 000000004264: BF0A4252
	s_cselect_b64 s[16:17], s[38:39], s[60:61]                 // 000000004268: 85903C26
	s_cmp_lt_u32 s83, s66                                      // 00000000426C: BF0A4253
	s_cselect_b64 s[18:19], s[38:39], s[60:61]                 // 000000004270: 85923C26
	s_cmp_lt_u32 s84, s66                                      // 000000004274: BF0A4254
	s_cselect_b64 s[20:21], s[38:39], s[60:61]                 // 000000004278: 85943C26
	s_cmp_lt_u32 s85, s66                                      // 00000000427C: BF0A4255
	s_cselect_b64 s[22:23], s[38:39], s[60:61]                 // 000000004280: 85963C26
	s_cmp_lt_u32 s86, s66                                      // 000000004284: BF0A4256
	s_cselect_b64 s[24:25], s[38:39], s[60:61]                 // 000000004288: 85983C26
	s_cmp_lt_u32 s87, s66                                      // 00000000428C: BF0A4257
	s_cselect_b64 s[26:27], s[38:39], s[60:61]                 // 000000004290: 859A3C26
	s_cmp_lt_u32 s88, s66                                      // 000000004294: BF0A4258
	s_cselect_b64 s[28:29], s[38:39], s[60:61]                 // 000000004298: 859C3C26
	s_cmp_lt_u32 s89, s66                                      // 00000000429C: BF0A4259
	s_cselect_b64 s[30:31], s[38:39], s[60:61]                 // 0000000042A0: 859E3C26
	s_waitcnt vmcnt(24)                                        // 0000000042A4: BF8C4F78
	buffer_load_dwordx4 a[0:3], v18, s[12:15], 0 offen         // 0000000042A8: E05C1000 80830012
	v_mul_f32_e64 v54, -v128, s6                               // 0000000042B0: D1050036 20000D80
	v_mul_f32_e64 v55, -v129, s6                               // 0000000042B8: D1050037 20000D81
	v_mul_f32_e64 v56, -v130, s6                               // 0000000042C0: D1050038 20000D82
	v_mul_f32_e64 v57, -v131, s6                               // 0000000042C8: D1050039 20000D83
	v_exp_f32_e32 v54, v54                                     // 0000000042D0: 7E6C4136
	v_exp_f32_e32 v55, v55                                     // 0000000042D4: 7E6E4137
	v_exp_f32_e32 v56, v56                                     // 0000000042D8: 7E704138
	v_exp_f32_e32 v57, v57                                     // 0000000042DC: 7E724139
	buffer_load_dwordx4 a[4:7], v18, s[12:15], 0 offen offset:1024// 0000000042E0: E05C1400 80830412
	v_add_f32_e64 v54, v54, 1.0                                // 0000000042E8: D1010036 0001E536
	v_add_f32_e64 v55, v55, 1.0                                // 0000000042F0: D1010037 0001E537
	v_add_f32_e64 v56, v56, 1.0                                // 0000000042F8: D1010038 0001E538
	v_add_f32_e64 v57, v57, 1.0                                // 000000004300: D1010039 0001E539
	v_rcp_f32_e32 v54, v54                                     // 000000004308: 7E6C4536
	v_rcp_f32_e32 v55, v55                                     // 00000000430C: 7E6E4537
	v_rcp_f32_e32 v56, v56                                     // 000000004310: 7E704538
	v_rcp_f32_e32 v57, v57                                     // 000000004314: 7E724539
	v_mul_f32_e32 v128, v128, v54                              // 000000004318: 0B006D80
	v_mul_f32_e32 v129, v129, v55                              // 00000000431C: 0B026F81
	v_mul_f32_e32 v130, v130, v56                              // 000000004320: 0B047182
	v_mul_f32_e32 v131, v131, v57                              // 000000004324: 0B067383
	buffer_load_dwordx4 a[8:11], v18, s[12:15], 0 offen offset:2048// 000000004328: E05C1800 80830812
	v_mul_f32_e64 v54, -v132, s6                               // 000000004330: D1050036 20000D84
	v_mul_f32_e64 v55, -v133, s6                               // 000000004338: D1050037 20000D85
	v_mul_f32_e64 v56, -v134, s6                               // 000000004340: D1050038 20000D86
	v_mul_f32_e64 v57, -v135, s6                               // 000000004348: D1050039 20000D87
	v_exp_f32_e32 v54, v54                                     // 000000004350: 7E6C4136
	v_exp_f32_e32 v55, v55                                     // 000000004354: 7E6E4137
	v_exp_f32_e32 v56, v56                                     // 000000004358: 7E704138
	v_exp_f32_e32 v57, v57                                     // 00000000435C: 7E724139
	buffer_load_dwordx4 a[12:15], v18, s[12:15], 0 offen offset:3072// 000000004360: E05C1C00 80830C12
	v_add_f32_e64 v54, v54, 1.0                                // 000000004368: D1010036 0001E536
	v_add_f32_e64 v55, v55, 1.0                                // 000000004370: D1010037 0001E537
	v_add_f32_e64 v56, v56, 1.0                                // 000000004378: D1010038 0001E538
	v_add_f32_e64 v57, v57, 1.0                                // 000000004380: D1010039 0001E539
	v_rcp_f32_e32 v54, v54                                     // 000000004388: 7E6C4536
	v_rcp_f32_e32 v55, v55                                     // 00000000438C: 7E6E4537
	v_rcp_f32_e32 v56, v56                                     // 000000004390: 7E704538
	v_rcp_f32_e32 v57, v57                                     // 000000004394: 7E724539
	v_mul_f32_e32 v132, v132, v54                              // 000000004398: 0B086D84
	v_mul_f32_e32 v133, v133, v55                              // 00000000439C: 0B0A6F85
	v_mul_f32_e32 v134, v134, v56                              // 0000000043A0: 0B0C7186
	v_mul_f32_e32 v135, v135, v57                              // 0000000043A4: 0B0E7387
	buffer_load_dwordx4 a[16:19], v19, s[12:15], 0 offen       // 0000000043A8: E05C1000 80831013
	v_mul_f32_e64 v54, -v136, s6                               // 0000000043B0: D1050036 20000D88
	v_mul_f32_e64 v55, -v137, s6                               // 0000000043B8: D1050037 20000D89
	v_mul_f32_e64 v56, -v138, s6                               // 0000000043C0: D1050038 20000D8A
	v_mul_f32_e64 v57, -v139, s6                               // 0000000043C8: D1050039 20000D8B
	v_exp_f32_e32 v54, v54                                     // 0000000043D0: 7E6C4136
	v_exp_f32_e32 v55, v55                                     // 0000000043D4: 7E6E4137
	v_exp_f32_e32 v56, v56                                     // 0000000043D8: 7E704138
	v_exp_f32_e32 v57, v57                                     // 0000000043DC: 7E724139
	buffer_load_dwordx4 a[20:23], v19, s[12:15], 0 offen offset:1024// 0000000043E0: E05C1400 80831413
	v_add_f32_e64 v54, v54, 1.0                                // 0000000043E8: D1010036 0001E536
	v_add_f32_e64 v55, v55, 1.0                                // 0000000043F0: D1010037 0001E537
	v_add_f32_e64 v56, v56, 1.0                                // 0000000043F8: D1010038 0001E538
	v_add_f32_e64 v57, v57, 1.0                                // 000000004400: D1010039 0001E539
	v_rcp_f32_e32 v54, v54                                     // 000000004408: 7E6C4536
	v_rcp_f32_e32 v55, v55                                     // 00000000440C: 7E6E4537
	v_rcp_f32_e32 v56, v56                                     // 000000004410: 7E704538
	v_rcp_f32_e32 v57, v57                                     // 000000004414: 7E724539
	v_mul_f32_e32 v136, v136, v54                              // 000000004418: 0B106D88
	v_mul_f32_e32 v137, v137, v55                              // 00000000441C: 0B126F89
	v_mul_f32_e32 v138, v138, v56                              // 000000004420: 0B14718A
	v_mul_f32_e32 v139, v139, v57                              // 000000004424: 0B16738B
	buffer_load_dwordx4 a[24:27], v19, s[12:15], 0 offen offset:2048// 000000004428: E05C1800 80831813
	v_mul_f32_e64 v54, -v140, s6                               // 000000004430: D1050036 20000D8C
	v_mul_f32_e64 v55, -v141, s6                               // 000000004438: D1050037 20000D8D
	v_mul_f32_e64 v56, -v142, s6                               // 000000004440: D1050038 20000D8E
	v_mul_f32_e64 v57, -v143, s6                               // 000000004448: D1050039 20000D8F
	v_exp_f32_e32 v54, v54                                     // 000000004450: 7E6C4136
	v_exp_f32_e32 v55, v55                                     // 000000004454: 7E6E4137
	v_exp_f32_e32 v56, v56                                     // 000000004458: 7E704138
	v_exp_f32_e32 v57, v57                                     // 00000000445C: 7E724139
	buffer_load_dwordx4 a[28:31], v19, s[12:15], 0 offen offset:3072// 000000004460: E05C1C00 80831C13
	v_add_f32_e64 v54, v54, 1.0                                // 000000004468: D1010036 0001E536
	v_add_f32_e64 v55, v55, 1.0                                // 000000004470: D1010037 0001E537
	v_add_f32_e64 v56, v56, 1.0                                // 000000004478: D1010038 0001E538
	v_add_f32_e64 v57, v57, 1.0                                // 000000004480: D1010039 0001E539
	v_rcp_f32_e32 v54, v54                                     // 000000004488: 7E6C4536
	v_rcp_f32_e32 v55, v55                                     // 00000000448C: 7E6E4537
	v_rcp_f32_e32 v56, v56                                     // 000000004490: 7E704538
	v_rcp_f32_e32 v57, v57                                     // 000000004494: 7E724539
	v_mul_f32_e32 v140, v140, v54                              // 000000004498: 0B186D8C
	v_mul_f32_e32 v141, v141, v55                              // 00000000449C: 0B1A6F8D
	v_mul_f32_e32 v142, v142, v56                              // 0000000044A0: 0B1C718E
	v_mul_f32_e32 v143, v143, v57                              // 0000000044A4: 0B1E738F
	s_waitcnt vmcnt(24)                                        // 0000000044A8: BF8C4F78
	buffer_load_dwordx4 a[32:35], v20, s[12:15], 0 offen       // 0000000044AC: E05C1000 80832014
	v_mul_f32_e64 v54, -v144, s6                               // 0000000044B4: D1050036 20000D90
	v_mul_f32_e64 v55, -v145, s6                               // 0000000044BC: D1050037 20000D91
	v_mul_f32_e64 v56, -v146, s6                               // 0000000044C4: D1050038 20000D92
	v_mul_f32_e64 v57, -v147, s6                               // 0000000044CC: D1050039 20000D93
	v_exp_f32_e32 v54, v54                                     // 0000000044D4: 7E6C4136
	v_exp_f32_e32 v55, v55                                     // 0000000044D8: 7E6E4137
	v_exp_f32_e32 v56, v56                                     // 0000000044DC: 7E704138
	v_exp_f32_e32 v57, v57                                     // 0000000044E0: 7E724139
	buffer_load_dwordx4 a[36:39], v20, s[12:15], 0 offen offset:1024// 0000000044E4: E05C1400 80832414
	v_add_f32_e64 v54, v54, 1.0                                // 0000000044EC: D1010036 0001E536
	v_add_f32_e64 v55, v55, 1.0                                // 0000000044F4: D1010037 0001E537
	v_add_f32_e64 v56, v56, 1.0                                // 0000000044FC: D1010038 0001E538
	v_add_f32_e64 v57, v57, 1.0                                // 000000004504: D1010039 0001E539
	v_rcp_f32_e32 v54, v54                                     // 00000000450C: 7E6C4536
	v_rcp_f32_e32 v55, v55                                     // 000000004510: 7E6E4537
	v_rcp_f32_e32 v56, v56                                     // 000000004514: 7E704538
	v_rcp_f32_e32 v57, v57                                     // 000000004518: 7E724539
	v_mul_f32_e32 v144, v144, v54                              // 00000000451C: 0B206D90
	v_mul_f32_e32 v145, v145, v55                              // 000000004520: 0B226F91
	v_mul_f32_e32 v146, v146, v56                              // 000000004524: 0B247192
	v_mul_f32_e32 v147, v147, v57                              // 000000004528: 0B267393
	buffer_load_dwordx4 a[40:43], v20, s[12:15], 0 offen offset:2048// 00000000452C: E05C1800 80832814
	v_mul_f32_e64 v54, -v148, s6                               // 000000004534: D1050036 20000D94
	v_mul_f32_e64 v55, -v149, s6                               // 00000000453C: D1050037 20000D95
	v_mul_f32_e64 v56, -v150, s6                               // 000000004544: D1050038 20000D96
	v_mul_f32_e64 v57, -v151, s6                               // 00000000454C: D1050039 20000D97
	v_exp_f32_e32 v54, v54                                     // 000000004554: 7E6C4136
	v_exp_f32_e32 v55, v55                                     // 000000004558: 7E6E4137
	v_exp_f32_e32 v56, v56                                     // 00000000455C: 7E704138
	v_exp_f32_e32 v57, v57                                     // 000000004560: 7E724139
	buffer_load_dwordx4 a[44:47], v20, s[12:15], 0 offen offset:3072// 000000004564: E05C1C00 80832C14
	v_add_f32_e64 v54, v54, 1.0                                // 00000000456C: D1010036 0001E536
	v_add_f32_e64 v55, v55, 1.0                                // 000000004574: D1010037 0001E537
	v_add_f32_e64 v56, v56, 1.0                                // 00000000457C: D1010038 0001E538
	v_add_f32_e64 v57, v57, 1.0                                // 000000004584: D1010039 0001E539
	v_rcp_f32_e32 v54, v54                                     // 00000000458C: 7E6C4536
	v_rcp_f32_e32 v55, v55                                     // 000000004590: 7E6E4537
	v_rcp_f32_e32 v56, v56                                     // 000000004594: 7E704538
	v_rcp_f32_e32 v57, v57                                     // 000000004598: 7E724539
	v_mul_f32_e32 v148, v148, v54                              // 00000000459C: 0B286D94
	v_mul_f32_e32 v149, v149, v55                              // 0000000045A0: 0B2A6F95
	v_mul_f32_e32 v150, v150, v56                              // 0000000045A4: 0B2C7196
	v_mul_f32_e32 v151, v151, v57                              // 0000000045A8: 0B2E7397
	buffer_load_dwordx4 a[48:51], v21, s[12:15], 0 offen       // 0000000045AC: E05C1000 80833015
	v_mul_f32_e64 v54, -v152, s6                               // 0000000045B4: D1050036 20000D98
	v_mul_f32_e64 v55, -v153, s6                               // 0000000045BC: D1050037 20000D99
	v_mul_f32_e64 v56, -v154, s6                               // 0000000045C4: D1050038 20000D9A
	v_mul_f32_e64 v57, -v155, s6                               // 0000000045CC: D1050039 20000D9B
	v_exp_f32_e32 v54, v54                                     // 0000000045D4: 7E6C4136
	v_exp_f32_e32 v55, v55                                     // 0000000045D8: 7E6E4137
	v_exp_f32_e32 v56, v56                                     // 0000000045DC: 7E704138
	v_exp_f32_e32 v57, v57                                     // 0000000045E0: 7E724139
	buffer_load_dwordx4 a[52:55], v21, s[12:15], 0 offen offset:1024// 0000000045E4: E05C1400 80833415
	v_add_f32_e64 v54, v54, 1.0                                // 0000000045EC: D1010036 0001E536
	v_add_f32_e64 v55, v55, 1.0                                // 0000000045F4: D1010037 0001E537
	v_add_f32_e64 v56, v56, 1.0                                // 0000000045FC: D1010038 0001E538
	v_add_f32_e64 v57, v57, 1.0                                // 000000004604: D1010039 0001E539
	v_rcp_f32_e32 v54, v54                                     // 00000000460C: 7E6C4536
	v_rcp_f32_e32 v55, v55                                     // 000000004610: 7E6E4537
	v_rcp_f32_e32 v56, v56                                     // 000000004614: 7E704538
	v_rcp_f32_e32 v57, v57                                     // 000000004618: 7E724539
	v_mul_f32_e32 v152, v152, v54                              // 00000000461C: 0B306D98
	v_mul_f32_e32 v153, v153, v55                              // 000000004620: 0B326F99
	v_mul_f32_e32 v154, v154, v56                              // 000000004624: 0B34719A
	v_mul_f32_e32 v155, v155, v57                              // 000000004628: 0B36739B
	buffer_load_dwordx4 a[56:59], v21, s[12:15], 0 offen offset:2048// 00000000462C: E05C1800 80833815
	v_mul_f32_e64 v54, -v156, s6                               // 000000004634: D1050036 20000D9C
	v_mul_f32_e64 v55, -v157, s6                               // 00000000463C: D1050037 20000D9D
	v_mul_f32_e64 v56, -v158, s6                               // 000000004644: D1050038 20000D9E
	v_mul_f32_e64 v57, -v159, s6                               // 00000000464C: D1050039 20000D9F
	v_exp_f32_e32 v54, v54                                     // 000000004654: 7E6C4136
	v_exp_f32_e32 v55, v55                                     // 000000004658: 7E6E4137
	v_exp_f32_e32 v56, v56                                     // 00000000465C: 7E704138
	v_exp_f32_e32 v57, v57                                     // 000000004660: 7E724139
	buffer_load_dwordx4 a[60:63], v21, s[12:15], 0 offen offset:3072// 000000004664: E05C1C00 80833C15
	v_add_f32_e64 v54, v54, 1.0                                // 00000000466C: D1010036 0001E536
	v_add_f32_e64 v55, v55, 1.0                                // 000000004674: D1010037 0001E537
	v_add_f32_e64 v56, v56, 1.0                                // 00000000467C: D1010038 0001E538
	v_add_f32_e64 v57, v57, 1.0                                // 000000004684: D1010039 0001E539
	v_rcp_f32_e32 v54, v54                                     // 00000000468C: 7E6C4536
	v_rcp_f32_e32 v55, v55                                     // 000000004690: 7E6E4537
	v_rcp_f32_e32 v56, v56                                     // 000000004694: 7E704538
	v_rcp_f32_e32 v57, v57                                     // 000000004698: 7E724539
	v_mul_f32_e32 v156, v156, v54                              // 00000000469C: 0B386D9C
	v_mul_f32_e32 v157, v157, v55                              // 0000000046A0: 0B3A6F9D
	v_mul_f32_e32 v158, v158, v56                              // 0000000046A4: 0B3C719E
	v_mul_f32_e32 v159, v159, v57                              // 0000000046A8: 0B3E739F
	s_waitcnt vmcnt(24)                                        // 0000000046AC: BF8C4F78
	buffer_load_dwordx4 a[64:67], v22, s[12:15], 0 offen       // 0000000046B0: E05C1000 80834016
	v_mul_f32_e64 v54, -v160, s6                               // 0000000046B8: D1050036 20000DA0
	v_mul_f32_e64 v55, -v161, s6                               // 0000000046C0: D1050037 20000DA1
	v_mul_f32_e64 v56, -v162, s6                               // 0000000046C8: D1050038 20000DA2
	v_mul_f32_e64 v57, -v163, s6                               // 0000000046D0: D1050039 20000DA3
	v_exp_f32_e32 v54, v54                                     // 0000000046D8: 7E6C4136
	v_exp_f32_e32 v55, v55                                     // 0000000046DC: 7E6E4137
	v_exp_f32_e32 v56, v56                                     // 0000000046E0: 7E704138
	v_exp_f32_e32 v57, v57                                     // 0000000046E4: 7E724139
	buffer_load_dwordx4 a[68:71], v22, s[12:15], 0 offen offset:1024// 0000000046E8: E05C1400 80834416
	v_add_f32_e64 v54, v54, 1.0                                // 0000000046F0: D1010036 0001E536
	v_add_f32_e64 v55, v55, 1.0                                // 0000000046F8: D1010037 0001E537
	v_add_f32_e64 v56, v56, 1.0                                // 000000004700: D1010038 0001E538
	v_add_f32_e64 v57, v57, 1.0                                // 000000004708: D1010039 0001E539
	v_rcp_f32_e32 v54, v54                                     // 000000004710: 7E6C4536
	v_rcp_f32_e32 v55, v55                                     // 000000004714: 7E6E4537
	v_rcp_f32_e32 v56, v56                                     // 000000004718: 7E704538
	v_rcp_f32_e32 v57, v57                                     // 00000000471C: 7E724539
	v_mul_f32_e32 v160, v160, v54                              // 000000004720: 0B406DA0
	v_mul_f32_e32 v161, v161, v55                              // 000000004724: 0B426FA1
	v_mul_f32_e32 v162, v162, v56                              // 000000004728: 0B4471A2
	v_mul_f32_e32 v163, v163, v57                              // 00000000472C: 0B4673A3
	buffer_load_dwordx4 a[72:75], v22, s[12:15], 0 offen offset:2048// 000000004730: E05C1800 80834816
	v_mul_f32_e64 v54, -v164, s6                               // 000000004738: D1050036 20000DA4
	v_mul_f32_e64 v55, -v165, s6                               // 000000004740: D1050037 20000DA5
	v_mul_f32_e64 v56, -v166, s6                               // 000000004748: D1050038 20000DA6
	v_mul_f32_e64 v57, -v167, s6                               // 000000004750: D1050039 20000DA7
	v_exp_f32_e32 v54, v54                                     // 000000004758: 7E6C4136
	v_exp_f32_e32 v55, v55                                     // 00000000475C: 7E6E4137
	v_exp_f32_e32 v56, v56                                     // 000000004760: 7E704138
	v_exp_f32_e32 v57, v57                                     // 000000004764: 7E724139
	buffer_load_dwordx4 a[76:79], v22, s[12:15], 0 offen offset:3072// 000000004768: E05C1C00 80834C16
	v_add_f32_e64 v54, v54, 1.0                                // 000000004770: D1010036 0001E536
	v_add_f32_e64 v55, v55, 1.0                                // 000000004778: D1010037 0001E537
	v_add_f32_e64 v56, v56, 1.0                                // 000000004780: D1010038 0001E538
	v_add_f32_e64 v57, v57, 1.0                                // 000000004788: D1010039 0001E539
	v_rcp_f32_e32 v54, v54                                     // 000000004790: 7E6C4536
	v_rcp_f32_e32 v55, v55                                     // 000000004794: 7E6E4537
	v_rcp_f32_e32 v56, v56                                     // 000000004798: 7E704538
	v_rcp_f32_e32 v57, v57                                     // 00000000479C: 7E724539
	v_mul_f32_e32 v164, v164, v54                              // 0000000047A0: 0B486DA4
	v_mul_f32_e32 v165, v165, v55                              // 0000000047A4: 0B4A6FA5
	v_mul_f32_e32 v166, v166, v56                              // 0000000047A8: 0B4C71A6
	v_mul_f32_e32 v167, v167, v57                              // 0000000047AC: 0B4E73A7
	buffer_load_dwordx4 a[80:83], v23, s[12:15], 0 offen       // 0000000047B0: E05C1000 80835017
	v_mul_f32_e64 v54, -v168, s6                               // 0000000047B8: D1050036 20000DA8
	v_mul_f32_e64 v55, -v169, s6                               // 0000000047C0: D1050037 20000DA9
	v_mul_f32_e64 v56, -v170, s6                               // 0000000047C8: D1050038 20000DAA
	v_mul_f32_e64 v57, -v171, s6                               // 0000000047D0: D1050039 20000DAB
	v_exp_f32_e32 v54, v54                                     // 0000000047D8: 7E6C4136
	v_exp_f32_e32 v55, v55                                     // 0000000047DC: 7E6E4137
	v_exp_f32_e32 v56, v56                                     // 0000000047E0: 7E704138
	v_exp_f32_e32 v57, v57                                     // 0000000047E4: 7E724139
	buffer_load_dwordx4 a[84:87], v23, s[12:15], 0 offen offset:1024// 0000000047E8: E05C1400 80835417
	v_add_f32_e64 v54, v54, 1.0                                // 0000000047F0: D1010036 0001E536
	v_add_f32_e64 v55, v55, 1.0                                // 0000000047F8: D1010037 0001E537
	v_add_f32_e64 v56, v56, 1.0                                // 000000004800: D1010038 0001E538
	v_add_f32_e64 v57, v57, 1.0                                // 000000004808: D1010039 0001E539
	v_rcp_f32_e32 v54, v54                                     // 000000004810: 7E6C4536
	v_rcp_f32_e32 v55, v55                                     // 000000004814: 7E6E4537
	v_rcp_f32_e32 v56, v56                                     // 000000004818: 7E704538
	v_rcp_f32_e32 v57, v57                                     // 00000000481C: 7E724539
	v_mul_f32_e32 v168, v168, v54                              // 000000004820: 0B506DA8
	v_mul_f32_e32 v169, v169, v55                              // 000000004824: 0B526FA9
	v_mul_f32_e32 v170, v170, v56                              // 000000004828: 0B5471AA
	v_mul_f32_e32 v171, v171, v57                              // 00000000482C: 0B5673AB
	buffer_load_dwordx4 a[88:91], v23, s[12:15], 0 offen offset:2048// 000000004830: E05C1800 80835817
	v_mul_f32_e64 v54, -v172, s6                               // 000000004838: D1050036 20000DAC
	v_mul_f32_e64 v55, -v173, s6                               // 000000004840: D1050037 20000DAD
	v_mul_f32_e64 v56, -v174, s6                               // 000000004848: D1050038 20000DAE
	v_mul_f32_e64 v57, -v175, s6                               // 000000004850: D1050039 20000DAF
	v_exp_f32_e32 v54, v54                                     // 000000004858: 7E6C4136
	v_exp_f32_e32 v55, v55                                     // 00000000485C: 7E6E4137
	v_exp_f32_e32 v56, v56                                     // 000000004860: 7E704138
	v_exp_f32_e32 v57, v57                                     // 000000004864: 7E724139
	buffer_load_dwordx4 a[92:95], v23, s[12:15], 0 offen offset:3072// 000000004868: E05C1C00 80835C17
	v_add_f32_e64 v54, v54, 1.0                                // 000000004870: D1010036 0001E536
	v_add_f32_e64 v55, v55, 1.0                                // 000000004878: D1010037 0001E537
	v_add_f32_e64 v56, v56, 1.0                                // 000000004880: D1010038 0001E538
	v_add_f32_e64 v57, v57, 1.0                                // 000000004888: D1010039 0001E539
	v_rcp_f32_e32 v54, v54                                     // 000000004890: 7E6C4536
	v_rcp_f32_e32 v55, v55                                     // 000000004894: 7E6E4537
	v_rcp_f32_e32 v56, v56                                     // 000000004898: 7E704538
	v_rcp_f32_e32 v57, v57                                     // 00000000489C: 7E724539
	v_mul_f32_e32 v172, v172, v54                              // 0000000048A0: 0B586DAC
	v_mul_f32_e32 v173, v173, v55                              // 0000000048A4: 0B5A6FAD
	v_mul_f32_e32 v174, v174, v56                              // 0000000048A8: 0B5C71AE
	v_mul_f32_e32 v175, v175, v57                              // 0000000048AC: 0B5E73AF
	s_waitcnt vmcnt(24)                                        // 0000000048B0: BF8C4F78
	buffer_load_dwordx4 a[96:99], v24, s[12:15], 0 offen       // 0000000048B4: E05C1000 80836018
	v_mul_f32_e64 v54, -v176, s6                               // 0000000048BC: D1050036 20000DB0
	v_mul_f32_e64 v55, -v177, s6                               // 0000000048C4: D1050037 20000DB1
	v_mul_f32_e64 v56, -v178, s6                               // 0000000048CC: D1050038 20000DB2
	v_mul_f32_e64 v57, -v179, s6                               // 0000000048D4: D1050039 20000DB3
	v_exp_f32_e32 v54, v54                                     // 0000000048DC: 7E6C4136
	v_exp_f32_e32 v55, v55                                     // 0000000048E0: 7E6E4137
	v_exp_f32_e32 v56, v56                                     // 0000000048E4: 7E704138
	v_exp_f32_e32 v57, v57                                     // 0000000048E8: 7E724139
	buffer_load_dwordx4 a[100:103], v24, s[12:15], 0 offen offset:1024// 0000000048EC: E05C1400 80836418
	v_add_f32_e64 v54, v54, 1.0                                // 0000000048F4: D1010036 0001E536
	v_add_f32_e64 v55, v55, 1.0                                // 0000000048FC: D1010037 0001E537
	v_add_f32_e64 v56, v56, 1.0                                // 000000004904: D1010038 0001E538
	v_add_f32_e64 v57, v57, 1.0                                // 00000000490C: D1010039 0001E539
	v_rcp_f32_e32 v54, v54                                     // 000000004914: 7E6C4536
	v_rcp_f32_e32 v55, v55                                     // 000000004918: 7E6E4537
	v_rcp_f32_e32 v56, v56                                     // 00000000491C: 7E704538
	v_rcp_f32_e32 v57, v57                                     // 000000004920: 7E724539
	v_mul_f32_e32 v176, v176, v54                              // 000000004924: 0B606DB0
	v_mul_f32_e32 v177, v177, v55                              // 000000004928: 0B626FB1
	v_mul_f32_e32 v178, v178, v56                              // 00000000492C: 0B6471B2
	v_mul_f32_e32 v179, v179, v57                              // 000000004930: 0B6673B3
	buffer_load_dwordx4 a[104:107], v24, s[12:15], 0 offen offset:2048// 000000004934: E05C1800 80836818
	v_mul_f32_e64 v54, -v180, s6                               // 00000000493C: D1050036 20000DB4
	v_mul_f32_e64 v55, -v181, s6                               // 000000004944: D1050037 20000DB5
	v_mul_f32_e64 v56, -v182, s6                               // 00000000494C: D1050038 20000DB6
	v_mul_f32_e64 v57, -v183, s6                               // 000000004954: D1050039 20000DB7
	v_exp_f32_e32 v54, v54                                     // 00000000495C: 7E6C4136
	v_exp_f32_e32 v55, v55                                     // 000000004960: 7E6E4137
	v_exp_f32_e32 v56, v56                                     // 000000004964: 7E704138
	v_exp_f32_e32 v57, v57                                     // 000000004968: 7E724139
	buffer_load_dwordx4 a[108:111], v24, s[12:15], 0 offen offset:3072// 00000000496C: E05C1C00 80836C18
	v_add_f32_e64 v54, v54, 1.0                                // 000000004974: D1010036 0001E536
	v_add_f32_e64 v55, v55, 1.0                                // 00000000497C: D1010037 0001E537
	v_add_f32_e64 v56, v56, 1.0                                // 000000004984: D1010038 0001E538
	v_add_f32_e64 v57, v57, 1.0                                // 00000000498C: D1010039 0001E539
	v_rcp_f32_e32 v54, v54                                     // 000000004994: 7E6C4536
	v_rcp_f32_e32 v55, v55                                     // 000000004998: 7E6E4537
	v_rcp_f32_e32 v56, v56                                     // 00000000499C: 7E704538
	v_rcp_f32_e32 v57, v57                                     // 0000000049A0: 7E724539
	v_mul_f32_e32 v180, v180, v54                              // 0000000049A4: 0B686DB4
	v_mul_f32_e32 v181, v181, v55                              // 0000000049A8: 0B6A6FB5
	v_mul_f32_e32 v182, v182, v56                              // 0000000049AC: 0B6C71B6
	v_mul_f32_e32 v183, v183, v57                              // 0000000049B0: 0B6E73B7
	buffer_load_dwordx4 a[112:115], v25, s[12:15], 0 offen     // 0000000049B4: E05C1000 80837019
	v_mul_f32_e64 v54, -v184, s6                               // 0000000049BC: D1050036 20000DB8
	v_mul_f32_e64 v55, -v185, s6                               // 0000000049C4: D1050037 20000DB9
	v_mul_f32_e64 v56, -v186, s6                               // 0000000049CC: D1050038 20000DBA
	v_mul_f32_e64 v57, -v187, s6                               // 0000000049D4: D1050039 20000DBB
	v_exp_f32_e32 v54, v54                                     // 0000000049DC: 7E6C4136
	v_exp_f32_e32 v55, v55                                     // 0000000049E0: 7E6E4137
	v_exp_f32_e32 v56, v56                                     // 0000000049E4: 7E704138
	v_exp_f32_e32 v57, v57                                     // 0000000049E8: 7E724139
	buffer_load_dwordx4 a[116:119], v25, s[12:15], 0 offen offset:1024// 0000000049EC: E05C1400 80837419
	v_add_f32_e64 v54, v54, 1.0                                // 0000000049F4: D1010036 0001E536
	v_add_f32_e64 v55, v55, 1.0                                // 0000000049FC: D1010037 0001E537
	v_add_f32_e64 v56, v56, 1.0                                // 000000004A04: D1010038 0001E538
	v_add_f32_e64 v57, v57, 1.0                                // 000000004A0C: D1010039 0001E539
	v_rcp_f32_e32 v54, v54                                     // 000000004A14: 7E6C4536
	v_rcp_f32_e32 v55, v55                                     // 000000004A18: 7E6E4537
	v_rcp_f32_e32 v56, v56                                     // 000000004A1C: 7E704538
	v_rcp_f32_e32 v57, v57                                     // 000000004A20: 7E724539
	v_mul_f32_e32 v184, v184, v54                              // 000000004A24: 0B706DB8
	v_mul_f32_e32 v185, v185, v55                              // 000000004A28: 0B726FB9
	v_mul_f32_e32 v186, v186, v56                              // 000000004A2C: 0B7471BA
	v_mul_f32_e32 v187, v187, v57                              // 000000004A30: 0B7673BB
	buffer_load_dwordx4 a[120:123], v25, s[12:15], 0 offen offset:2048// 000000004A34: E05C1800 80837819
	v_mul_f32_e64 v54, -v188, s6                               // 000000004A3C: D1050036 20000DBC
	v_mul_f32_e64 v55, -v189, s6                               // 000000004A44: D1050037 20000DBD
	v_mul_f32_e64 v56, -v190, s6                               // 000000004A4C: D1050038 20000DBE
	v_mul_f32_e64 v57, -v191, s6                               // 000000004A54: D1050039 20000DBF
	v_exp_f32_e32 v54, v54                                     // 000000004A5C: 7E6C4136
	v_exp_f32_e32 v55, v55                                     // 000000004A60: 7E6E4137
	v_exp_f32_e32 v56, v56                                     // 000000004A64: 7E704138
	v_exp_f32_e32 v57, v57                                     // 000000004A68: 7E724139
	buffer_load_dwordx4 a[124:127], v25, s[12:15], 0 offen offset:3072// 000000004A6C: E05C1C00 80837C19
	v_add_f32_e64 v54, v54, 1.0                                // 000000004A74: D1010036 0001E536
	v_add_f32_e64 v55, v55, 1.0                                // 000000004A7C: D1010037 0001E537
	v_add_f32_e64 v56, v56, 1.0                                // 000000004A84: D1010038 0001E538
	v_add_f32_e64 v57, v57, 1.0                                // 000000004A8C: D1010039 0001E539
	v_rcp_f32_e32 v54, v54                                     // 000000004A94: 7E6C4536
	v_rcp_f32_e32 v55, v55                                     // 000000004A98: 7E6E4537
	v_rcp_f32_e32 v56, v56                                     // 000000004A9C: 7E704538
	v_rcp_f32_e32 v57, v57                                     // 000000004AA0: 7E724539
	v_mul_f32_e32 v188, v188, v54                              // 000000004AA4: 0B786DBC
	v_mul_f32_e32 v189, v189, v55                              // 000000004AA8: 0B7A6FBD
	v_mul_f32_e32 v190, v190, v56                              // 000000004AAC: 0B7C71BE
	v_mul_f32_e32 v191, v191, v57                              // 000000004AB0: 0B7E73BF
	v_cmp_u_f32_e64 s[34:35], v128, v128                       // 000000004AB4: D0480022 00030180
	v_add3_u32 v50, v128, v53, 1                               // 000000004ABC: D1FF0032 02066B80
	v_cndmask_b32_e64 v54, v50, v52, s[34:35]                  // 000000004AC4: D1000036 008A6932
	v_cmp_u_f32_e64 s[34:35], v129, v129                       // 000000004ACC: D0480022 00030381
	v_add3_u32 v50, v129, v53, 1                               // 000000004AD4: D1FF0032 02066B81
	v_cndmask_b32_e64 v55, v50, v52, s[34:35]                  // 000000004ADC: D1000037 008A6932
	v_perm_b32 v128, v55, v54, s52                             // 000000004AE4: D1ED0080 00D26D37
	v_cmp_u_f32_e64 s[34:35], v130, v130                       // 000000004AEC: D0480022 00030582
	v_add3_u32 v50, v130, v53, 1                               // 000000004AF4: D1FF0032 02066B82
	v_cndmask_b32_e64 v54, v50, v52, s[34:35]                  // 000000004AFC: D1000036 008A6932
	v_cmp_u_f32_e64 s[34:35], v131, v131                       // 000000004B04: D0480022 00030783
	v_add3_u32 v50, v131, v53, 1                               // 000000004B0C: D1FF0032 02066B83
	v_cndmask_b32_e64 v55, v50, v52, s[34:35]                  // 000000004B14: D1000037 008A6932
	v_perm_b32 v129, v55, v54, s52                             // 000000004B1C: D1ED0081 00D26D37
	v_cmp_u_f32_e64 s[34:35], v132, v132                       // 000000004B24: D0480022 00030984
	v_add3_u32 v50, v132, v53, 1                               // 000000004B2C: D1FF0032 02066B84
	v_cndmask_b32_e64 v54, v50, v52, s[34:35]                  // 000000004B34: D1000036 008A6932
	v_cmp_u_f32_e64 s[34:35], v133, v133                       // 000000004B3C: D0480022 00030B85
	v_add3_u32 v50, v133, v53, 1                               // 000000004B44: D1FF0032 02066B85
	v_cndmask_b32_e64 v55, v50, v52, s[34:35]                  // 000000004B4C: D1000037 008A6932
	v_perm_b32 v130, v55, v54, s52                             // 000000004B54: D1ED0082 00D26D37
	v_cmp_u_f32_e64 s[34:35], v134, v134                       // 000000004B5C: D0480022 00030D86
	v_add3_u32 v50, v134, v53, 1                               // 000000004B64: D1FF0032 02066B86
	v_cndmask_b32_e64 v54, v50, v52, s[34:35]                  // 000000004B6C: D1000036 008A6932
	v_cmp_u_f32_e64 s[34:35], v135, v135                       // 000000004B74: D0480022 00030F87
	v_add3_u32 v50, v135, v53, 1                               // 000000004B7C: D1FF0032 02066B87
	v_cndmask_b32_e64 v55, v50, v52, s[34:35]                  // 000000004B84: D1000037 008A6932
	v_perm_b32 v131, v55, v54, s52                             // 000000004B8C: D1ED0083 00D26D37
	v_cmp_u_f32_e64 s[34:35], v136, v136                       // 000000004B94: D0480022 00031188
	v_add3_u32 v50, v136, v53, 1                               // 000000004B9C: D1FF0032 02066B88
	v_cndmask_b32_e64 v54, v50, v52, s[34:35]                  // 000000004BA4: D1000036 008A6932
	v_cmp_u_f32_e64 s[34:35], v137, v137                       // 000000004BAC: D0480022 00031389
	v_add3_u32 v50, v137, v53, 1                               // 000000004BB4: D1FF0032 02066B89
	v_cndmask_b32_e64 v55, v50, v52, s[34:35]                  // 000000004BBC: D1000037 008A6932
	v_perm_b32 v132, v55, v54, s52                             // 000000004BC4: D1ED0084 00D26D37
	v_cmp_u_f32_e64 s[34:35], v138, v138                       // 000000004BCC: D0480022 0003158A
	v_add3_u32 v50, v138, v53, 1                               // 000000004BD4: D1FF0032 02066B8A
	v_cndmask_b32_e64 v54, v50, v52, s[34:35]                  // 000000004BDC: D1000036 008A6932
	v_cmp_u_f32_e64 s[34:35], v139, v139                       // 000000004BE4: D0480022 0003178B
	v_add3_u32 v50, v139, v53, 1                               // 000000004BEC: D1FF0032 02066B8B
	v_cndmask_b32_e64 v55, v50, v52, s[34:35]                  // 000000004BF4: D1000037 008A6932
	v_perm_b32 v133, v55, v54, s52                             // 000000004BFC: D1ED0085 00D26D37
	v_cmp_u_f32_e64 s[34:35], v140, v140                       // 000000004C04: D0480022 0003198C
	v_add3_u32 v50, v140, v53, 1                               // 000000004C0C: D1FF0032 02066B8C
	v_cndmask_b32_e64 v54, v50, v52, s[34:35]                  // 000000004C14: D1000036 008A6932
	v_cmp_u_f32_e64 s[34:35], v141, v141                       // 000000004C1C: D0480022 00031B8D
	v_add3_u32 v50, v141, v53, 1                               // 000000004C24: D1FF0032 02066B8D
	v_cndmask_b32_e64 v55, v50, v52, s[34:35]                  // 000000004C2C: D1000037 008A6932
	v_perm_b32 v134, v55, v54, s52                             // 000000004C34: D1ED0086 00D26D37
	v_cmp_u_f32_e64 s[34:35], v142, v142                       // 000000004C3C: D0480022 00031D8E
	v_add3_u32 v50, v142, v53, 1                               // 000000004C44: D1FF0032 02066B8E
	v_cndmask_b32_e64 v54, v50, v52, s[34:35]                  // 000000004C4C: D1000036 008A6932
	v_cmp_u_f32_e64 s[34:35], v143, v143                       // 000000004C54: D0480022 00031F8F
	v_add3_u32 v50, v143, v53, 1                               // 000000004C5C: D1FF0032 02066B8F
	v_cndmask_b32_e64 v55, v50, v52, s[34:35]                  // 000000004C64: D1000037 008A6932
	v_perm_b32 v135, v55, v54, s52                             // 000000004C6C: D1ED0087 00D26D37
	v_cmp_u_f32_e64 s[34:35], v144, v144                       // 000000004C74: D0480022 00032190
	v_add3_u32 v50, v144, v53, 1                               // 000000004C7C: D1FF0032 02066B90
	v_cndmask_b32_e64 v54, v50, v52, s[34:35]                  // 000000004C84: D1000036 008A6932
	v_cmp_u_f32_e64 s[34:35], v145, v145                       // 000000004C8C: D0480022 00032391
	v_add3_u32 v50, v145, v53, 1                               // 000000004C94: D1FF0032 02066B91
	v_cndmask_b32_e64 v55, v50, v52, s[34:35]                  // 000000004C9C: D1000037 008A6932
	v_perm_b32 v136, v55, v54, s52                             // 000000004CA4: D1ED0088 00D26D37
	v_cmp_u_f32_e64 s[34:35], v146, v146                       // 000000004CAC: D0480022 00032592
	v_add3_u32 v50, v146, v53, 1                               // 000000004CB4: D1FF0032 02066B92
	v_cndmask_b32_e64 v54, v50, v52, s[34:35]                  // 000000004CBC: D1000036 008A6932
	v_cmp_u_f32_e64 s[34:35], v147, v147                       // 000000004CC4: D0480022 00032793
	v_add3_u32 v50, v147, v53, 1                               // 000000004CCC: D1FF0032 02066B93
	v_cndmask_b32_e64 v55, v50, v52, s[34:35]                  // 000000004CD4: D1000037 008A6932
	v_perm_b32 v137, v55, v54, s52                             // 000000004CDC: D1ED0089 00D26D37
	v_cmp_u_f32_e64 s[34:35], v148, v148                       // 000000004CE4: D0480022 00032994
	v_add3_u32 v50, v148, v53, 1                               // 000000004CEC: D1FF0032 02066B94
	v_cndmask_b32_e64 v54, v50, v52, s[34:35]                  // 000000004CF4: D1000036 008A6932
	v_cmp_u_f32_e64 s[34:35], v149, v149                       // 000000004CFC: D0480022 00032B95
	v_add3_u32 v50, v149, v53, 1                               // 000000004D04: D1FF0032 02066B95
	v_cndmask_b32_e64 v55, v50, v52, s[34:35]                  // 000000004D0C: D1000037 008A6932
	v_perm_b32 v138, v55, v54, s52                             // 000000004D14: D1ED008A 00D26D37
	v_cmp_u_f32_e64 s[34:35], v150, v150                       // 000000004D1C: D0480022 00032D96
	v_add3_u32 v50, v150, v53, 1                               // 000000004D24: D1FF0032 02066B96
	v_cndmask_b32_e64 v54, v50, v52, s[34:35]                  // 000000004D2C: D1000036 008A6932
	v_cmp_u_f32_e64 s[34:35], v151, v151                       // 000000004D34: D0480022 00032F97
	v_add3_u32 v50, v151, v53, 1                               // 000000004D3C: D1FF0032 02066B97
	v_cndmask_b32_e64 v55, v50, v52, s[34:35]                  // 000000004D44: D1000037 008A6932
	v_perm_b32 v139, v55, v54, s52                             // 000000004D4C: D1ED008B 00D26D37
	v_cmp_u_f32_e64 s[34:35], v152, v152                       // 000000004D54: D0480022 00033198
	v_add3_u32 v50, v152, v53, 1                               // 000000004D5C: D1FF0032 02066B98
	v_cndmask_b32_e64 v54, v50, v52, s[34:35]                  // 000000004D64: D1000036 008A6932
	v_cmp_u_f32_e64 s[34:35], v153, v153                       // 000000004D6C: D0480022 00033399
	v_add3_u32 v50, v153, v53, 1                               // 000000004D74: D1FF0032 02066B99
	v_cndmask_b32_e64 v55, v50, v52, s[34:35]                  // 000000004D7C: D1000037 008A6932
	v_perm_b32 v140, v55, v54, s52                             // 000000004D84: D1ED008C 00D26D37
	v_cmp_u_f32_e64 s[34:35], v154, v154                       // 000000004D8C: D0480022 0003359A
	v_add3_u32 v50, v154, v53, 1                               // 000000004D94: D1FF0032 02066B9A
	v_cndmask_b32_e64 v54, v50, v52, s[34:35]                  // 000000004D9C: D1000036 008A6932
	v_cmp_u_f32_e64 s[34:35], v155, v155                       // 000000004DA4: D0480022 0003379B
	v_add3_u32 v50, v155, v53, 1                               // 000000004DAC: D1FF0032 02066B9B
	v_cndmask_b32_e64 v55, v50, v52, s[34:35]                  // 000000004DB4: D1000037 008A6932
	v_perm_b32 v141, v55, v54, s52                             // 000000004DBC: D1ED008D 00D26D37
	v_cmp_u_f32_e64 s[34:35], v156, v156                       // 000000004DC4: D0480022 0003399C
	v_add3_u32 v50, v156, v53, 1                               // 000000004DCC: D1FF0032 02066B9C
	v_cndmask_b32_e64 v54, v50, v52, s[34:35]                  // 000000004DD4: D1000036 008A6932
	v_cmp_u_f32_e64 s[34:35], v157, v157                       // 000000004DDC: D0480022 00033B9D
	v_add3_u32 v50, v157, v53, 1                               // 000000004DE4: D1FF0032 02066B9D
	v_cndmask_b32_e64 v55, v50, v52, s[34:35]                  // 000000004DEC: D1000037 008A6932
	v_perm_b32 v142, v55, v54, s52                             // 000000004DF4: D1ED008E 00D26D37
	v_cmp_u_f32_e64 s[34:35], v158, v158                       // 000000004DFC: D0480022 00033D9E
	v_add3_u32 v50, v158, v53, 1                               // 000000004E04: D1FF0032 02066B9E
	v_cndmask_b32_e64 v54, v50, v52, s[34:35]                  // 000000004E0C: D1000036 008A6932
	v_cmp_u_f32_e64 s[34:35], v159, v159                       // 000000004E14: D0480022 00033F9F
	v_add3_u32 v50, v159, v53, 1                               // 000000004E1C: D1FF0032 02066B9F
	v_cndmask_b32_e64 v55, v50, v52, s[34:35]                  // 000000004E24: D1000037 008A6932
	v_perm_b32 v143, v55, v54, s52                             // 000000004E2C: D1ED008F 00D26D37
	v_cmp_u_f32_e64 s[34:35], v160, v160                       // 000000004E34: D0480022 000341A0
	v_add3_u32 v50, v160, v53, 1                               // 000000004E3C: D1FF0032 02066BA0
	v_cndmask_b32_e64 v54, v50, v52, s[34:35]                  // 000000004E44: D1000036 008A6932
	v_cmp_u_f32_e64 s[34:35], v161, v161                       // 000000004E4C: D0480022 000343A1
	v_add3_u32 v50, v161, v53, 1                               // 000000004E54: D1FF0032 02066BA1
	v_cndmask_b32_e64 v55, v50, v52, s[34:35]                  // 000000004E5C: D1000037 008A6932
	v_perm_b32 v144, v55, v54, s52                             // 000000004E64: D1ED0090 00D26D37
	v_cmp_u_f32_e64 s[34:35], v162, v162                       // 000000004E6C: D0480022 000345A2
	v_add3_u32 v50, v162, v53, 1                               // 000000004E74: D1FF0032 02066BA2
	v_cndmask_b32_e64 v54, v50, v52, s[34:35]                  // 000000004E7C: D1000036 008A6932
	v_cmp_u_f32_e64 s[34:35], v163, v163                       // 000000004E84: D0480022 000347A3
	v_add3_u32 v50, v163, v53, 1                               // 000000004E8C: D1FF0032 02066BA3
	v_cndmask_b32_e64 v55, v50, v52, s[34:35]                  // 000000004E94: D1000037 008A6932
	v_perm_b32 v145, v55, v54, s52                             // 000000004E9C: D1ED0091 00D26D37
	v_cmp_u_f32_e64 s[34:35], v164, v164                       // 000000004EA4: D0480022 000349A4
	v_add3_u32 v50, v164, v53, 1                               // 000000004EAC: D1FF0032 02066BA4
	v_cndmask_b32_e64 v54, v50, v52, s[34:35]                  // 000000004EB4: D1000036 008A6932
	v_cmp_u_f32_e64 s[34:35], v165, v165                       // 000000004EBC: D0480022 00034BA5
	v_add3_u32 v50, v165, v53, 1                               // 000000004EC4: D1FF0032 02066BA5
	v_cndmask_b32_e64 v55, v50, v52, s[34:35]                  // 000000004ECC: D1000037 008A6932
	v_perm_b32 v146, v55, v54, s52                             // 000000004ED4: D1ED0092 00D26D37
	v_cmp_u_f32_e64 s[34:35], v166, v166                       // 000000004EDC: D0480022 00034DA6
	v_add3_u32 v50, v166, v53, 1                               // 000000004EE4: D1FF0032 02066BA6
	v_cndmask_b32_e64 v54, v50, v52, s[34:35]                  // 000000004EEC: D1000036 008A6932
	v_cmp_u_f32_e64 s[34:35], v167, v167                       // 000000004EF4: D0480022 00034FA7
	v_add3_u32 v50, v167, v53, 1                               // 000000004EFC: D1FF0032 02066BA7
	v_cndmask_b32_e64 v55, v50, v52, s[34:35]                  // 000000004F04: D1000037 008A6932
	v_perm_b32 v147, v55, v54, s52                             // 000000004F0C: D1ED0093 00D26D37
	v_cmp_u_f32_e64 s[34:35], v168, v168                       // 000000004F14: D0480022 000351A8
	v_add3_u32 v50, v168, v53, 1                               // 000000004F1C: D1FF0032 02066BA8
	v_cndmask_b32_e64 v54, v50, v52, s[34:35]                  // 000000004F24: D1000036 008A6932
	v_cmp_u_f32_e64 s[34:35], v169, v169                       // 000000004F2C: D0480022 000353A9
	v_add3_u32 v50, v169, v53, 1                               // 000000004F34: D1FF0032 02066BA9
	v_cndmask_b32_e64 v55, v50, v52, s[34:35]                  // 000000004F3C: D1000037 008A6932
	v_perm_b32 v148, v55, v54, s52                             // 000000004F44: D1ED0094 00D26D37
	v_cmp_u_f32_e64 s[34:35], v170, v170                       // 000000004F4C: D0480022 000355AA
	v_add3_u32 v50, v170, v53, 1                               // 000000004F54: D1FF0032 02066BAA
	v_cndmask_b32_e64 v54, v50, v52, s[34:35]                  // 000000004F5C: D1000036 008A6932
	v_cmp_u_f32_e64 s[34:35], v171, v171                       // 000000004F64: D0480022 000357AB
	v_add3_u32 v50, v171, v53, 1                               // 000000004F6C: D1FF0032 02066BAB
	v_cndmask_b32_e64 v55, v50, v52, s[34:35]                  // 000000004F74: D1000037 008A6932
	v_perm_b32 v149, v55, v54, s52                             // 000000004F7C: D1ED0095 00D26D37
	v_cmp_u_f32_e64 s[34:35], v172, v172                       // 000000004F84: D0480022 000359AC
	v_add3_u32 v50, v172, v53, 1                               // 000000004F8C: D1FF0032 02066BAC
	v_cndmask_b32_e64 v54, v50, v52, s[34:35]                  // 000000004F94: D1000036 008A6932
	v_cmp_u_f32_e64 s[34:35], v173, v173                       // 000000004F9C: D0480022 00035BAD
	v_add3_u32 v50, v173, v53, 1                               // 000000004FA4: D1FF0032 02066BAD
	v_cndmask_b32_e64 v55, v50, v52, s[34:35]                  // 000000004FAC: D1000037 008A6932
	v_perm_b32 v150, v55, v54, s52                             // 000000004FB4: D1ED0096 00D26D37
	v_cmp_u_f32_e64 s[34:35], v174, v174                       // 000000004FBC: D0480022 00035DAE
	v_add3_u32 v50, v174, v53, 1                               // 000000004FC4: D1FF0032 02066BAE
	v_cndmask_b32_e64 v54, v50, v52, s[34:35]                  // 000000004FCC: D1000036 008A6932
	v_cmp_u_f32_e64 s[34:35], v175, v175                       // 000000004FD4: D0480022 00035FAF
	v_add3_u32 v50, v175, v53, 1                               // 000000004FDC: D1FF0032 02066BAF
	v_cndmask_b32_e64 v55, v50, v52, s[34:35]                  // 000000004FE4: D1000037 008A6932
	v_perm_b32 v151, v55, v54, s52                             // 000000004FEC: D1ED0097 00D26D37
	v_cmp_u_f32_e64 s[34:35], v176, v176                       // 000000004FF4: D0480022 000361B0
	v_add3_u32 v50, v176, v53, 1                               // 000000004FFC: D1FF0032 02066BB0
	v_cndmask_b32_e64 v54, v50, v52, s[34:35]                  // 000000005004: D1000036 008A6932
	v_cmp_u_f32_e64 s[34:35], v177, v177                       // 00000000500C: D0480022 000363B1
	v_add3_u32 v50, v177, v53, 1                               // 000000005014: D1FF0032 02066BB1
	v_cndmask_b32_e64 v55, v50, v52, s[34:35]                  // 00000000501C: D1000037 008A6932
	v_perm_b32 v152, v55, v54, s52                             // 000000005024: D1ED0098 00D26D37
	v_cmp_u_f32_e64 s[34:35], v178, v178                       // 00000000502C: D0480022 000365B2
	v_add3_u32 v50, v178, v53, 1                               // 000000005034: D1FF0032 02066BB2
	v_cndmask_b32_e64 v54, v50, v52, s[34:35]                  // 00000000503C: D1000036 008A6932
	v_cmp_u_f32_e64 s[34:35], v179, v179                       // 000000005044: D0480022 000367B3
	v_add3_u32 v50, v179, v53, 1                               // 00000000504C: D1FF0032 02066BB3
	v_cndmask_b32_e64 v55, v50, v52, s[34:35]                  // 000000005054: D1000037 008A6932
	v_perm_b32 v153, v55, v54, s52                             // 00000000505C: D1ED0099 00D26D37
	v_cmp_u_f32_e64 s[34:35], v180, v180                       // 000000005064: D0480022 000369B4
	v_add3_u32 v50, v180, v53, 1                               // 00000000506C: D1FF0032 02066BB4
	v_cndmask_b32_e64 v54, v50, v52, s[34:35]                  // 000000005074: D1000036 008A6932
	v_cmp_u_f32_e64 s[34:35], v181, v181                       // 00000000507C: D0480022 00036BB5
	v_add3_u32 v50, v181, v53, 1                               // 000000005084: D1FF0032 02066BB5
	v_cndmask_b32_e64 v55, v50, v52, s[34:35]                  // 00000000508C: D1000037 008A6932
	v_perm_b32 v154, v55, v54, s52                             // 000000005094: D1ED009A 00D26D37
	v_cmp_u_f32_e64 s[34:35], v182, v182                       // 00000000509C: D0480022 00036DB6
	v_add3_u32 v50, v182, v53, 1                               // 0000000050A4: D1FF0032 02066BB6
	v_cndmask_b32_e64 v54, v50, v52, s[34:35]                  // 0000000050AC: D1000036 008A6932
	v_cmp_u_f32_e64 s[34:35], v183, v183                       // 0000000050B4: D0480022 00036FB7
	v_add3_u32 v50, v183, v53, 1                               // 0000000050BC: D1FF0032 02066BB7
	v_cndmask_b32_e64 v55, v50, v52, s[34:35]                  // 0000000050C4: D1000037 008A6932
	v_perm_b32 v155, v55, v54, s52                             // 0000000050CC: D1ED009B 00D26D37
	v_cmp_u_f32_e64 s[34:35], v184, v184                       // 0000000050D4: D0480022 000371B8
	v_add3_u32 v50, v184, v53, 1                               // 0000000050DC: D1FF0032 02066BB8
	v_cndmask_b32_e64 v54, v50, v52, s[34:35]                  // 0000000050E4: D1000036 008A6932
	v_cmp_u_f32_e64 s[34:35], v185, v185                       // 0000000050EC: D0480022 000373B9
	v_add3_u32 v50, v185, v53, 1                               // 0000000050F4: D1FF0032 02066BB9
	v_cndmask_b32_e64 v55, v50, v52, s[34:35]                  // 0000000050FC: D1000037 008A6932
	v_perm_b32 v156, v55, v54, s52                             // 000000005104: D1ED009C 00D26D37
	v_cmp_u_f32_e64 s[34:35], v186, v186                       // 00000000510C: D0480022 000375BA
	v_add3_u32 v50, v186, v53, 1                               // 000000005114: D1FF0032 02066BBA
	v_cndmask_b32_e64 v54, v50, v52, s[34:35]                  // 00000000511C: D1000036 008A6932
	v_cmp_u_f32_e64 s[34:35], v187, v187                       // 000000005124: D0480022 000377BB
	v_add3_u32 v50, v187, v53, 1                               // 00000000512C: D1FF0032 02066BBB
	v_cndmask_b32_e64 v55, v50, v52, s[34:35]                  // 000000005134: D1000037 008A6932
	v_perm_b32 v157, v55, v54, s52                             // 00000000513C: D1ED009D 00D26D37
	v_cmp_u_f32_e64 s[34:35], v188, v188                       // 000000005144: D0480022 000379BC
	v_add3_u32 v50, v188, v53, 1                               // 00000000514C: D1FF0032 02066BBC
	v_cndmask_b32_e64 v54, v50, v52, s[34:35]                  // 000000005154: D1000036 008A6932
	v_cmp_u_f32_e64 s[34:35], v189, v189                       // 00000000515C: D0480022 00037BBD
	v_add3_u32 v50, v189, v53, 1                               // 000000005164: D1FF0032 02066BBD
	v_cndmask_b32_e64 v55, v50, v52, s[34:35]                  // 00000000516C: D1000037 008A6932
	v_perm_b32 v158, v55, v54, s52                             // 000000005174: D1ED009E 00D26D37
	v_cmp_u_f32_e64 s[34:35], v190, v190                       // 00000000517C: D0480022 00037DBE
	v_add3_u32 v50, v190, v53, 1                               // 000000005184: D1FF0032 02066BBE
	v_cndmask_b32_e64 v54, v50, v52, s[34:35]                  // 00000000518C: D1000036 008A6932
	v_cmp_u_f32_e64 s[34:35], v191, v191                       // 000000005194: D0480022 00037FBF
	v_add3_u32 v50, v191, v53, 1                               // 00000000519C: D1FF0032 02066BBF
	v_cndmask_b32_e64 v55, v50, v52, s[34:35]                  // 0000000051A4: D1000037 008A6932
	v_perm_b32 v159, v55, v54, s52                             // 0000000051AC: D1ED009F 00D26D37
	v_lshlrev_b32_e32 v54, 3, v0                               // 0000000051B4: 246C0083
	s_mul_i32 s60, 0x200, s7                                   // 0000000051B8: 923C07FF 00000200
	v_add_u32_e64 v54, v54, s60                                // 0000000051C0: D1340036 00007936
	ds_write_b64 v54, v[128:129] offset:16640                  // 0000000051C8: D89A4100 00008036
	ds_write_b64 v54, v[130:131] offset:33024                  // 0000000051D0: D89A8100 00008236
	ds_write_b64 v54, v[132:133] offset:18688                  // 0000000051D8: D89A4900 00008436
	ds_write_b64 v54, v[134:135] offset:35072                  // 0000000051E0: D89A8900 00008636
	ds_write_b64 v54, v[136:137] offset:20736                  // 0000000051E8: D89A5100 00008836
	ds_write_b64 v54, v[138:139] offset:37120                  // 0000000051F0: D89A9100 00008A36
	ds_write_b64 v54, v[140:141] offset:22784                  // 0000000051F8: D89A5900 00008C36
	ds_write_b64 v54, v[142:143] offset:39168                  // 000000005200: D89A9900 00008E36
	ds_write_b64 v54, v[144:145] offset:24832                  // 000000005208: D89A6100 00009036
	ds_write_b64 v54, v[146:147] offset:41216                  // 000000005210: D89AA100 00009236
	ds_write_b64 v54, v[148:149] offset:26880                  // 000000005218: D89A6900 00009436
	ds_write_b64 v54, v[150:151] offset:43264                  // 000000005220: D89AA900 00009636
	ds_write_b64 v54, v[152:153] offset:28928                  // 000000005228: D89A7100 00009836
	ds_write_b64 v54, v[154:155] offset:45312                  // 000000005230: D89AB100 00009A36
	ds_write_b64 v54, v[156:157] offset:30976                  // 000000005238: D89A7900 00009C36
	ds_write_b64 v54, v[158:159] offset:47360                  // 000000005240: D89AB900 00009E36
	s_waitcnt lgkmcnt(0)                                       // 000000005248: BF8CC07F
	s_barrier                                                  // 00000000524C: BF8A0000
	v_lshrrev_b32_e32 v54, 4, v0                               // 000000005250: 206C0084
	v_lshlrev_b32_e32 v55, 6, v54                              // 000000005254: 246E6C86
	v_and_b32_e32 v54, 15, v0                                  // 000000005258: 266C008F
	v_lshlrev_b32_e32 v54, 1, v54                              // 00000000525C: 246C6C81
	v_add_u32_e32 v55, v54, v55                                // 000000005260: 686E6F36
	v_lshlrev_b32_e32 v54, 2, v55                              // 000000005264: 246C6E82
	ds_read_b64 v[128:129], v54 offset:16640                   // 000000005268: D8EC4100 80000036
	ds_read_b64 v[130:131], v54 offset:16768                   // 000000005270: D8EC4180 82000036
	ds_read_b64 v[132:133], v54 offset:17664                   // 000000005278: D8EC4500 84000036
	ds_read_b64 v[134:135], v54 offset:17792                   // 000000005280: D8EC4580 86000036
	ds_read_b64 v[136:137], v54 offset:18688                   // 000000005288: D8EC4900 88000036
	ds_read_b64 v[138:139], v54 offset:18816                   // 000000005290: D8EC4980 8A000036
	ds_read_b64 v[140:141], v54 offset:19712                   // 000000005298: D8EC4D00 8C000036
	ds_read_b64 v[142:143], v54 offset:19840                   // 0000000052A0: D8EC4D80 8E000036
	ds_read_b64 v[144:145], v54 offset:20736                   // 0000000052A8: D8EC5100 90000036
	ds_read_b64 v[146:147], v54 offset:20864                   // 0000000052B0: D8EC5180 92000036
	ds_read_b64 v[148:149], v54 offset:21760                   // 0000000052B8: D8EC5500 94000036
	ds_read_b64 v[150:151], v54 offset:21888                   // 0000000052C0: D8EC5580 96000036
	ds_read_b64 v[152:153], v54 offset:22784                   // 0000000052C8: D8EC5900 98000036
	ds_read_b64 v[154:155], v54 offset:22912                   // 0000000052D0: D8EC5980 9A000036
	ds_read_b64 v[156:157], v54 offset:23808                   // 0000000052D8: D8EC5D00 9C000036
	ds_read_b64 v[158:159], v54 offset:23936                   // 0000000052E0: D8EC5D80 9E000036
	ds_read_b64 v[160:161], v54 offset:24832                   // 0000000052E8: D8EC6100 A0000036
	ds_read_b64 v[162:163], v54 offset:24960                   // 0000000052F0: D8EC6180 A2000036
	ds_read_b64 v[164:165], v54 offset:25856                   // 0000000052F8: D8EC6500 A4000036
	ds_read_b64 v[166:167], v54 offset:25984                   // 000000005300: D8EC6580 A6000036
	ds_read_b64 v[168:169], v54 offset:26880                   // 000000005308: D8EC6900 A8000036
	ds_read_b64 v[170:171], v54 offset:27008                   // 000000005310: D8EC6980 AA000036
	ds_read_b64 v[172:173], v54 offset:27904                   // 000000005318: D8EC6D00 AC000036
	ds_read_b64 v[174:175], v54 offset:28032                   // 000000005320: D8EC6D80 AE000036
	ds_read_b64 v[176:177], v54 offset:28928                   // 000000005328: D8EC7100 B0000036
	ds_read_b64 v[178:179], v54 offset:29056                   // 000000005330: D8EC7180 B2000036
	ds_read_b64 v[180:181], v54 offset:29952                   // 000000005338: D8EC7500 B4000036
	ds_read_b64 v[182:183], v54 offset:30080                   // 000000005340: D8EC7580 B6000036
	ds_read_b64 v[184:185], v54 offset:30976                   // 000000005348: D8EC7900 B8000036
	ds_read_b64 v[186:187], v54 offset:31104                   // 000000005350: D8EC7980 BA000036
	ds_read_b64 v[188:189], v54 offset:32000                   // 000000005358: D8EC7D00 BC000036
	ds_read_b64 v[190:191], v54 offset:32128                   // 000000005360: D8EC7D80 BE000036
	ds_read_b64 v[192:193], v54 offset:33024                   // 000000005368: D8EC8100 C0000036
	ds_read_b64 v[194:195], v54 offset:33152                   // 000000005370: D8EC8180 C2000036
	ds_read_b64 v[196:197], v54 offset:34048                   // 000000005378: D8EC8500 C4000036
	ds_read_b64 v[198:199], v54 offset:34176                   // 000000005380: D8EC8580 C6000036
	ds_read_b64 v[200:201], v54 offset:35072                   // 000000005388: D8EC8900 C8000036
	ds_read_b64 v[202:203], v54 offset:35200                   // 000000005390: D8EC8980 CA000036
	ds_read_b64 v[204:205], v54 offset:36096                   // 000000005398: D8EC8D00 CC000036
	ds_read_b64 v[206:207], v54 offset:36224                   // 0000000053A0: D8EC8D80 CE000036
	ds_read_b64 v[208:209], v54 offset:37120                   // 0000000053A8: D8EC9100 D0000036
	ds_read_b64 v[210:211], v54 offset:37248                   // 0000000053B0: D8EC9180 D2000036
	ds_read_b64 v[212:213], v54 offset:38144                   // 0000000053B8: D8EC9500 D4000036
	ds_read_b64 v[214:215], v54 offset:38272                   // 0000000053C0: D8EC9580 D6000036
	ds_read_b64 v[216:217], v54 offset:39168                   // 0000000053C8: D8EC9900 D8000036
	ds_read_b64 v[218:219], v54 offset:39296                   // 0000000053D0: D8EC9980 DA000036
	ds_read_b64 v[220:221], v54 offset:40192                   // 0000000053D8: D8EC9D00 DC000036
	ds_read_b64 v[222:223], v54 offset:40320                   // 0000000053E0: D8EC9D80 DE000036
	ds_read_b64 v[224:225], v54 offset:41216                   // 0000000053E8: D8ECA100 E0000036
	ds_read_b64 v[226:227], v54 offset:41344                   // 0000000053F0: D8ECA180 E2000036
	ds_read_b64 v[228:229], v54 offset:42240                   // 0000000053F8: D8ECA500 E4000036
	ds_read_b64 v[230:231], v54 offset:42368                   // 000000005400: D8ECA580 E6000036
	ds_read_b64 v[232:233], v54 offset:43264                   // 000000005408: D8ECA900 E8000036
	ds_read_b64 v[234:235], v54 offset:43392                   // 000000005410: D8ECA980 EA000036
	ds_read_b64 v[236:237], v54 offset:44288                   // 000000005418: D8ECAD00 EC000036
	ds_read_b64 v[238:239], v54 offset:44416                   // 000000005420: D8ECAD80 EE000036
	ds_read_b64 v[240:241], v54 offset:45312                   // 000000005428: D8ECB100 F0000036
	ds_read_b64 v[242:243], v54 offset:45440                   // 000000005430: D8ECB180 F2000036
	ds_read_b64 v[244:245], v54 offset:46336                   // 000000005438: D8ECB500 F4000036
	ds_read_b64 v[246:247], v54 offset:46464                   // 000000005440: D8ECB580 F6000036
	ds_read_b64 v[248:249], v54 offset:47360                   // 000000005448: D8ECB900 F8000036
	ds_read_b64 v[250:251], v54 offset:47488                   // 000000005450: D8ECB980 FA000036
	ds_read_b64 v[252:253], v54 offset:48384                   // 000000005458: D8ECBD00 FC000036
	ds_read_b64 v[254:255], v54 offset:48512                   // 000000005460: D8ECBD80 FE000036
	s_add_u32 s12, s56, s12                                    // 000000005468: 800C0C38
	s_addc_u32 s13, 0, s13                                     // 00000000546C: 820D0D80
	v_mov_b32_e32 v64, 0                                       // 000000005470: 7E800280
	v_mov_b32_e32 v80, 0                                       // 000000005474: 7EA00280
	v_mov_b32_e32 v65, 0                                       // 000000005478: 7E820280
	v_mov_b32_e32 v81, 0                                       // 00000000547C: 7EA20280
	v_mov_b32_e32 v66, 0                                       // 000000005480: 7E840280
	v_mov_b32_e32 v82, 0                                       // 000000005484: 7EA40280
	v_mov_b32_e32 v67, 0                                       // 000000005488: 7E860280
	v_mov_b32_e32 v83, 0                                       // 00000000548C: 7EA60280
	v_mov_b32_e32 v68, 0                                       // 000000005490: 7E880280
	v_mov_b32_e32 v84, 0                                       // 000000005494: 7EA80280
	v_mov_b32_e32 v69, 0                                       // 000000005498: 7E8A0280
	v_mov_b32_e32 v85, 0                                       // 00000000549C: 7EAA0280
	v_mov_b32_e32 v70, 0                                       // 0000000054A0: 7E8C0280
	v_mov_b32_e32 v86, 0                                       // 0000000054A4: 7EAC0280
	v_mov_b32_e32 v71, 0                                       // 0000000054A8: 7E8E0280
	v_mov_b32_e32 v87, 0                                       // 0000000054AC: 7EAE0280
	ds_write_b64 v3, v[64:65] offset:16640                     // 0000000054B0: D89A4100 00004003
	ds_write_b64 v3, v[66:67] offset:20992                     // 0000000054B8: D89A5200 00004203
	ds_write_b64 v3, v[68:69] offset:18816                     // 0000000054C0: D89A4980 00004403
	ds_write_b64 v3, v[70:71] offset:23168                     // 0000000054C8: D89A5A80 00004603
	s_mov_b32 s80, 0                                           // 0000000054D0: BED00080
	s_waitcnt vmcnt(24)                                        // 0000000054D4: BF8C4F78

00000000000054d8 <label_09B6>:
	s_waitcnt vmcnt(30) lgkmcnt(0)                             // 0000000054D8: BF8C407E
	s_barrier                                                  // 0000000054DC: BF8A0000
	v_mfma_f32_16x16x16_bf16 v[64:67], a[0:1], v[128:129], 0   // 0000000054E0: D3E10040 0A030100
	ds_read_b32 v10, v4 offset:16640                           // 0000000054E8: D86C4100 0A000004
	ds_read_b32 v11, v4 offset:16672                           // 0000000054F0: D86C4120 0B000004
	v_mfma_f32_16x16x16_bf16 v[64:67], a[2:3], v[130:131], v[64:67]// 0000000054F8: D3E10040 0D030502
	buffer_load_dwordx4 a[128:131], v18, s[12:15], 0 offen     // 000000005500: E05C1000 80838012
	v_mfma_f32_16x16x16_bf16 v[64:67], a[4:5], v[132:133], v[64:67]// 000000005508: D3E10040 0D030904
	ds_read_b32 v12, v4 offset:16704                           // 000000005510: D86C4140 0C000004
	ds_read_b32 v13, v4 offset:16736                           // 000000005518: D86C4160 0D000004
	v_mfma_f32_16x16x16_bf16 v[64:67], a[6:7], v[134:135], v[64:67]// 000000005520: D3E10040 0D030D06
	v_mfma_f32_16x16x16_bf16 v[64:67], a[8:9], v[136:137], v[64:67]// 000000005528: D3E10040 0D031108
	ds_read_b32 v14, v4 offset:20992                           // 000000005530: D86C5200 0E000004
	ds_read_b32 v15, v4 offset:21024                           // 000000005538: D86C5220 0F000004
	v_mfma_f32_16x16x16_bf16 v[64:67], a[10:11], v[138:139], v[64:67]// 000000005540: D3E10040 0D03150A
	buffer_load_dwordx4 a[132:135], v18, s[12:15], 0 offen offset:1024// 000000005548: E05C1400 80838412
	v_mfma_f32_16x16x16_bf16 v[64:67], a[12:13], v[140:141], v[64:67]// 000000005550: D3E10040 0D03190C
	ds_read_b32 v16, v4 offset:21056                           // 000000005558: D86C5240 10000004
	ds_read_b32 v17, v4 offset:21088                           // 000000005560: D86C5260 11000004
	v_mfma_f32_16x16x16_bf16 v[64:67], a[14:15], v[142:143], v[64:67]// 000000005568: D3E10040 0D031D0E
	v_mfma_f32_16x16x16_bf16 v[68:71], a[0:1], v[192:193], 0   // 000000005570: D3E10044 0A038100
	v_mfma_f32_16x16x16_bf16 v[68:71], a[2:3], v[194:195], v[68:71]// 000000005578: D3E10044 0D138502
	buffer_load_dwordx4 a[136:139], v18, s[12:15], 0 offen offset:2048// 000000005580: E05C1800 80838812
	v_mfma_f32_16x16x16_bf16 v[68:71], a[4:5], v[196:197], v[68:71]// 000000005588: D3E10044 0D138904
	v_mfma_f32_16x16x16_bf16 v[68:71], a[6:7], v[198:199], v[68:71]// 000000005590: D3E10044 0D138D06
	v_mfma_f32_16x16x16_bf16 v[68:71], a[8:9], v[200:201], v[68:71]// 000000005598: D3E10044 0D139108
	v_mfma_f32_16x16x16_bf16 v[68:71], a[10:11], v[202:203], v[68:71]// 0000000055A0: D3E10044 0D13950A
	buffer_load_dwordx4 a[140:143], v18, s[12:15], 0 offen offset:3072// 0000000055A8: E05C1C00 80838C12
	v_mfma_f32_16x16x16_bf16 v[68:71], a[12:13], v[204:205], v[68:71]// 0000000055B0: D3E10044 0D13990C
	v_mfma_f32_16x16x16_bf16 v[68:71], a[14:15], v[206:207], v[68:71]// 0000000055B8: D3E10044 0D139D0E
	s_waitcnt lgkmcnt(0)                                       // 0000000055C0: BF8CC07F
	s_mov_b64 exec, s[16:17]                                   // 0000000055C4: BEFE0110
	global_atomic_pk_add_f16 v34, v10, s[8:9]                  // 0000000055C8: DD388000 00080A22
	s_mov_b64 exec, s[38:39]                                   // 0000000055D0: BEFE0126
	v_mfma_f32_16x16x16_bf16 v[72:75], a[16:17], v[128:129], 0 // 0000000055D4: D3E10048 0A030110
	v_mfma_f32_16x16x16_bf16 v[72:75], a[18:19], v[130:131], v[72:75]// 0000000055DC: D3E10048 0D230512
	buffer_load_dwordx4 a[144:147], v19, s[12:15], 0 offen     // 0000000055E4: E05C1000 80839013
	v_mfma_f32_16x16x16_bf16 v[72:75], a[20:21], v[132:133], v[72:75]// 0000000055EC: D3E10048 0D230914
	v_mfma_f32_16x16x16_bf16 v[72:75], a[22:23], v[134:135], v[72:75]// 0000000055F4: D3E10048 0D230D16
	v_mfma_f32_16x16x16_bf16 v[72:75], a[24:25], v[136:137], v[72:75]// 0000000055FC: D3E10048 0D231118
	v_mfma_f32_16x16x16_bf16 v[72:75], a[26:27], v[138:139], v[72:75]// 000000005604: D3E10048 0D23151A
	buffer_load_dwordx4 a[148:151], v19, s[12:15], 0 offen offset:1024// 00000000560C: E05C1400 80839413
	v_mfma_f32_16x16x16_bf16 v[72:75], a[28:29], v[140:141], v[72:75]// 000000005614: D3E10048 0D23191C
	v_mfma_f32_16x16x16_bf16 v[72:75], a[30:31], v[142:143], v[72:75]// 00000000561C: D3E10048 0D231D1E
	v_mfma_f32_16x16x16_bf16 v[76:79], a[16:17], v[192:193], 0 // 000000005624: D3E1004C 0A038110
	v_mfma_f32_16x16x16_bf16 v[76:79], a[18:19], v[194:195], v[76:79]// 00000000562C: D3E1004C 0D338512
	buffer_load_dwordx4 a[152:155], v19, s[12:15], 0 offen offset:2048// 000000005634: E05C1800 80839813
	v_mfma_f32_16x16x16_bf16 v[76:79], a[20:21], v[196:197], v[76:79]// 00000000563C: D3E1004C 0D338914
	v_mfma_f32_16x16x16_bf16 v[76:79], a[22:23], v[198:199], v[76:79]// 000000005644: D3E1004C 0D338D16
	v_mfma_f32_16x16x16_bf16 v[76:79], a[24:25], v[200:201], v[76:79]// 00000000564C: D3E1004C 0D339118
	v_mfma_f32_16x16x16_bf16 v[76:79], a[26:27], v[202:203], v[76:79]// 000000005654: D3E1004C 0D33951A
	buffer_load_dwordx4 a[156:159], v19, s[12:15], 0 offen offset:3072// 00000000565C: E05C1C00 80839C13
	v_mfma_f32_16x16x16_bf16 v[76:79], a[28:29], v[204:205], v[76:79]// 000000005664: D3E1004C 0D33991C
	v_mfma_f32_16x16x16_bf16 v[76:79], a[30:31], v[206:207], v[76:79]// 00000000566C: D3E1004C 0D339D1E
	s_mov_b64 exec, s[18:19]                                   // 000000005674: BEFE0112
	global_atomic_pk_add_f16 v36, v11, s[8:9]                  // 000000005678: DD388000 00080B24
	s_mov_b64 exec, s[38:39]                                   // 000000005680: BEFE0126
	s_waitcnt vmcnt(30)                                        // 000000005684: BF8C4F7E
	v_mfma_f32_16x16x16_bf16 v[64:67], a[32:33], v[144:145], v[64:67]// 000000005688: D3E10040 0D032120
	ds_write_b64 v3, v[80:81] offset:25344                     // 000000005690: D89A6300 00005003
	v_mfma_f32_16x16x16_bf16 v[64:67], a[34:35], v[146:147], v[64:67]// 000000005698: D3E10040 0D032522
	buffer_load_dwordx4 a[160:163], v20, s[12:15], 0 offen     // 0000000056A0: E05C1000 8083A014
	v_mfma_f32_16x16x16_bf16 v[64:67], a[36:37], v[148:149], v[64:67]// 0000000056A8: D3E10040 0D032924
	ds_write_b64 v3, v[82:83] offset:29696                     // 0000000056B0: D89A7400 00005203
	v_mfma_f32_16x16x16_bf16 v[64:67], a[38:39], v[150:151], v[64:67]// 0000000056B8: D3E10040 0D032D26
	v_mfma_f32_16x16x16_bf16 v[64:67], a[40:41], v[152:153], v[64:67]// 0000000056C0: D3E10040 0D033128
	ds_write_b64 v3, v[84:85] offset:27520                     // 0000000056C8: D89A6B80 00005403
	v_mfma_f32_16x16x16_bf16 v[64:67], a[42:43], v[154:155], v[64:67]// 0000000056D0: D3E10040 0D03352A
	buffer_load_dwordx4 a[164:167], v20, s[12:15], 0 offen offset:1024// 0000000056D8: E05C1400 8083A414
	v_mfma_f32_16x16x16_bf16 v[64:67], a[44:45], v[156:157], v[64:67]// 0000000056E0: D3E10040 0D03392C
	ds_write_b64 v3, v[86:87] offset:31872                     // 0000000056E8: D89A7C80 00005603
	v_mfma_f32_16x16x16_bf16 v[64:67], a[46:47], v[158:159], v[64:67]// 0000000056F0: D3E10040 0D033D2E
	v_mfma_f32_16x16x16_bf16 v[68:71], a[32:33], v[208:209], v[68:71]// 0000000056F8: D3E10044 0D13A120
	v_mfma_f32_16x16x16_bf16 v[68:71], a[34:35], v[210:211], v[68:71]// 000000005700: D3E10044 0D13A522
	buffer_load_dwordx4 a[168:171], v20, s[12:15], 0 offen offset:2048// 000000005708: E05C1800 8083A814
	v_mfma_f32_16x16x16_bf16 v[68:71], a[36:37], v[212:213], v[68:71]// 000000005710: D3E10044 0D13A924
	v_mfma_f32_16x16x16_bf16 v[68:71], a[38:39], v[214:215], v[68:71]// 000000005718: D3E10044 0D13AD26
	v_mfma_f32_16x16x16_bf16 v[68:71], a[40:41], v[216:217], v[68:71]// 000000005720: D3E10044 0D13B128
	v_mfma_f32_16x16x16_bf16 v[68:71], a[42:43], v[218:219], v[68:71]// 000000005728: D3E10044 0D13B52A
	buffer_load_dwordx4 a[172:175], v20, s[12:15], 0 offen offset:3072// 000000005730: E05C1C00 8083AC14
	v_mfma_f32_16x16x16_bf16 v[68:71], a[44:45], v[220:221], v[68:71]// 000000005738: D3E10044 0D13B92C
	v_mfma_f32_16x16x16_bf16 v[68:71], a[46:47], v[222:223], v[68:71]// 000000005740: D3E10044 0D13BD2E
	s_mov_b64 exec, s[20:21]                                   // 000000005748: BEFE0114
	global_atomic_pk_add_f16 v38, v12, s[8:9]                  // 00000000574C: DD388000 00080C26
	s_mov_b64 exec, s[38:39]                                   // 000000005754: BEFE0126
	v_mfma_f32_16x16x16_bf16 v[72:75], a[48:49], v[144:145], v[72:75]// 000000005758: D3E10048 0D232130
	v_mfma_f32_16x16x16_bf16 v[72:75], a[50:51], v[146:147], v[72:75]// 000000005760: D3E10048 0D232532
	buffer_load_dwordx4 a[176:179], v21, s[12:15], 0 offen     // 000000005768: E05C1000 8083B015
	v_mfma_f32_16x16x16_bf16 v[72:75], a[52:53], v[148:149], v[72:75]// 000000005770: D3E10048 0D232934
	v_mfma_f32_16x16x16_bf16 v[72:75], a[54:55], v[150:151], v[72:75]// 000000005778: D3E10048 0D232D36
	v_mfma_f32_16x16x16_bf16 v[72:75], a[56:57], v[152:153], v[72:75]// 000000005780: D3E10048 0D233138
	v_mfma_f32_16x16x16_bf16 v[72:75], a[58:59], v[154:155], v[72:75]// 000000005788: D3E10048 0D23353A
	buffer_load_dwordx4 a[180:183], v21, s[12:15], 0 offen offset:1024// 000000005790: E05C1400 8083B415
	v_mfma_f32_16x16x16_bf16 v[72:75], a[60:61], v[156:157], v[72:75]// 000000005798: D3E10048 0D23393C
	v_mfma_f32_16x16x16_bf16 v[72:75], a[62:63], v[158:159], v[72:75]// 0000000057A0: D3E10048 0D233D3E
	v_mfma_f32_16x16x16_bf16 v[76:79], a[48:49], v[208:209], v[76:79]// 0000000057A8: D3E1004C 0D33A130
	v_mfma_f32_16x16x16_bf16 v[76:79], a[50:51], v[210:211], v[76:79]// 0000000057B0: D3E1004C 0D33A532
	buffer_load_dwordx4 a[184:187], v21, s[12:15], 0 offen offset:2048// 0000000057B8: E05C1800 8083B815
	v_mfma_f32_16x16x16_bf16 v[76:79], a[52:53], v[212:213], v[76:79]// 0000000057C0: D3E1004C 0D33A934
	v_mfma_f32_16x16x16_bf16 v[76:79], a[54:55], v[214:215], v[76:79]// 0000000057C8: D3E1004C 0D33AD36
	v_mfma_f32_16x16x16_bf16 v[76:79], a[56:57], v[216:217], v[76:79]// 0000000057D0: D3E1004C 0D33B138
	v_mfma_f32_16x16x16_bf16 v[76:79], a[58:59], v[218:219], v[76:79]// 0000000057D8: D3E1004C 0D33B53A
	buffer_load_dwordx4 a[188:191], v21, s[12:15], 0 offen offset:3072// 0000000057E0: E05C1C00 8083BC15
	v_mfma_f32_16x16x16_bf16 v[76:79], a[60:61], v[220:221], v[76:79]// 0000000057E8: D3E1004C 0D33B93C
	v_mfma_f32_16x16x16_bf16 v[76:79], a[62:63], v[222:223], v[76:79]// 0000000057F0: D3E1004C 0D33BD3E
	s_mov_b64 exec, s[22:23]                                   // 0000000057F8: BEFE0116
	global_atomic_pk_add_f16 v40, v13, s[8:9]                  // 0000000057FC: DD388000 00080D28
	s_mov_b64 exec, s[38:39]                                   // 000000005804: BEFE0126
	s_waitcnt vmcnt(30)                                        // 000000005808: BF8C4F7E
	v_mfma_f32_16x16x16_bf16 v[64:67], a[64:65], v[160:161], v[64:67]// 00000000580C: D3E10040 0D034140
	v_mfma_f32_16x16x16_bf16 v[64:67], a[66:67], v[162:163], v[64:67]// 000000005814: D3E10040 0D034542
	buffer_load_dwordx4 a[192:195], v22, s[12:15], 0 offen     // 00000000581C: E05C1000 8083C016
	v_mfma_f32_16x16x16_bf16 v[64:67], a[68:69], v[164:165], v[64:67]// 000000005824: D3E10040 0D034944
	s_add_u32 s60, 0x100, s80                                  // 00000000582C: 803C50FF 00000100
	s_cmp_lt_u32 s60, s81                                      // 000000005834: BF0A513C
	s_cselect_b32 s56, s56, 0                                  // 000000005838: 85388038
	v_mfma_f32_16x16x16_bf16 v[64:67], a[70:71], v[166:167], v[64:67]// 00000000583C: D3E10040 0D034D46
	v_mfma_f32_16x16x16_bf16 v[64:67], a[72:73], v[168:169], v[64:67]// 000000005844: D3E10040 0D035148
	v_mfma_f32_16x16x16_bf16 v[64:67], a[74:75], v[170:171], v[64:67]// 00000000584C: D3E10040 0D03554A
	buffer_load_dwordx4 a[196:199], v22, s[12:15], 0 offen offset:1024// 000000005854: E05C1400 8083C416
	v_mfma_f32_16x16x16_bf16 v[64:67], a[76:77], v[172:173], v[64:67]// 00000000585C: D3E10040 0D03594C
	s_cmp_ge_u32 s80, 0x100                                    // 000000005864: BF09FF50 00000100
	s_cselect_b32 s59, 0x100, s59                              // 00000000586C: 853B3BFF 00000100
	v_mfma_f32_16x16x16_bf16 v[64:67], a[78:79], v[174:175], v[64:67]// 000000005874: D3E10040 0D035D4E
	v_mfma_f32_16x16x16_bf16 v[68:71], a[64:65], v[224:225], v[68:71]// 00000000587C: D3E10044 0D13C140
	v_mfma_f32_16x16x16_bf16 v[68:71], a[66:67], v[226:227], v[68:71]// 000000005884: D3E10044 0D13C542
	buffer_load_dwordx4 a[200:203], v22, s[12:15], 0 offen offset:2048// 00000000588C: E05C1800 8083C816
	v_mfma_f32_16x16x16_bf16 v[68:71], a[68:69], v[228:229], v[68:71]// 000000005894: D3E10044 0D13C944
	s_add_u32 s16, s57, s16                                    // 00000000589C: 80101039
	s_addc_u32 s17, 0, s17                                     // 0000000058A0: 82111180
	v_mfma_f32_16x16x16_bf16 v[68:71], a[70:71], v[230:231], v[68:71]// 0000000058A4: D3E10044 0D13CD46
	v_mfma_f32_16x16x16_bf16 v[68:71], a[72:73], v[232:233], v[68:71]// 0000000058AC: D3E10044 0D13D148
	v_mfma_f32_16x16x16_bf16 v[68:71], a[74:75], v[234:235], v[68:71]// 0000000058B4: D3E10044 0D13D54A
	buffer_load_dwordx4 a[204:207], v22, s[12:15], 0 offen offset:3072// 0000000058BC: E05C1C00 8083CC16
	v_mfma_f32_16x16x16_bf16 v[68:71], a[76:77], v[236:237], v[68:71]// 0000000058C4: D3E10044 0D13D94C
	v_mfma_f32_16x16x16_bf16 v[68:71], a[78:79], v[238:239], v[68:71]// 0000000058CC: D3E10044 0D13DD4E
	s_mov_b64 exec, s[24:25]                                   // 0000000058D4: BEFE0118
	global_atomic_pk_add_f16 v42, v14, s[8:9]                  // 0000000058D8: DD388000 00080E2A
	s_mov_b64 exec, s[38:39]                                   // 0000000058E0: BEFE0126
	v_mfma_f32_16x16x16_bf16 v[72:75], a[80:81], v[160:161], v[72:75]// 0000000058E4: D3E10048 0D234150
	v_mfma_f32_16x16x16_bf16 v[72:75], a[82:83], v[162:163], v[72:75]// 0000000058EC: D3E10048 0D234552
	buffer_load_dwordx4 a[208:211], v23, s[12:15], 0 offen     // 0000000058F4: E05C1000 8083D017
	v_mfma_f32_16x16x16_bf16 v[72:75], a[84:85], v[164:165], v[72:75]// 0000000058FC: D3E10048 0D234954
	v_mfma_f32_16x16x16_bf16 v[72:75], a[86:87], v[166:167], v[72:75]// 000000005904: D3E10048 0D234D56
	v_mfma_f32_16x16x16_bf16 v[72:75], a[88:89], v[168:169], v[72:75]// 00000000590C: D3E10048 0D235158
	v_mfma_f32_16x16x16_bf16 v[72:75], a[90:91], v[170:171], v[72:75]// 000000005914: D3E10048 0D23555A
	buffer_load_dwordx4 a[212:215], v23, s[12:15], 0 offen offset:1024// 00000000591C: E05C1400 8083D417
	v_mfma_f32_16x16x16_bf16 v[72:75], a[92:93], v[172:173], v[72:75]// 000000005924: D3E10048 0D23595C
	v_mfma_f32_16x16x16_bf16 v[72:75], a[94:95], v[174:175], v[72:75]// 00000000592C: D3E10048 0D235D5E
	v_mfma_f32_16x16x16_bf16 v[76:79], a[80:81], v[224:225], v[76:79]// 000000005934: D3E1004C 0D33C150
	v_mfma_f32_16x16x16_bf16 v[76:79], a[82:83], v[226:227], v[76:79]// 00000000593C: D3E1004C 0D33C552
	buffer_load_dwordx4 a[216:219], v23, s[12:15], 0 offen offset:2048// 000000005944: E05C1800 8083D817
	v_mfma_f32_16x16x16_bf16 v[76:79], a[84:85], v[228:229], v[76:79]// 00000000594C: D3E1004C 0D33C954
	v_mfma_f32_16x16x16_bf16 v[76:79], a[86:87], v[230:231], v[76:79]// 000000005954: D3E1004C 0D33CD56
	v_mfma_f32_16x16x16_bf16 v[76:79], a[88:89], v[232:233], v[76:79]// 00000000595C: D3E1004C 0D33D158
	v_mfma_f32_16x16x16_bf16 v[76:79], a[90:91], v[234:235], v[76:79]// 000000005964: D3E1004C 0D33D55A
	buffer_load_dwordx4 a[220:223], v23, s[12:15], 0 offen offset:3072// 00000000596C: E05C1C00 8083DC17
	v_mfma_f32_16x16x16_bf16 v[76:79], a[92:93], v[236:237], v[76:79]// 000000005974: D3E1004C 0D33D95C
	v_mfma_f32_16x16x16_bf16 v[76:79], a[94:95], v[238:239], v[76:79]// 00000000597C: D3E1004C 0D33DD5E
	s_mov_b64 exec, s[26:27]                                   // 000000005984: BEFE011A
	global_atomic_pk_add_f16 v44, v15, s[8:9]                  // 000000005988: DD388000 00080F2C
	s_mov_b64 exec, s[38:39]                                   // 000000005990: BEFE0126
	s_waitcnt vmcnt(30)                                        // 000000005994: BF8C4F7E
	v_mfma_f32_16x16x16_bf16 v[64:67], a[96:97], v[176:177], v[64:67]// 000000005998: D3E10040 0D036160
	v_mfma_f32_16x16x16_bf16 v[64:67], a[98:99], v[178:179], v[64:67]// 0000000059A0: D3E10040 0D036562
	buffer_load_dwordx4 a[224:227], v24, s[12:15], 0 offen     // 0000000059A8: E05C1000 8083E018
	v_mfma_f32_16x16x16_bf16 v[64:67], a[100:101], v[180:181], v[64:67]// 0000000059B0: D3E10040 0D036964
	v_mfma_f32_16x16x16_bf16 v[64:67], a[102:103], v[182:183], v[64:67]// 0000000059B8: D3E10040 0D036D66
	v_mfma_f32_16x16x16_bf16 v[64:67], a[104:105], v[184:185], v[64:67]// 0000000059C0: D3E10040 0D037168
	v_mfma_f32_16x16x16_bf16 v[64:67], a[106:107], v[186:187], v[64:67]// 0000000059C8: D3E10040 0D03756A
	buffer_load_dwordx4 a[228:231], v24, s[12:15], 0 offen offset:1024// 0000000059D0: E05C1400 8083E418
	v_mfma_f32_16x16x16_bf16 v[64:67], a[108:109], v[188:189], v[64:67]// 0000000059D8: D3E10040 0D03796C
	v_mfma_f32_16x16x16_bf16 v[64:67], a[110:111], v[190:191], v[64:67]// 0000000059E0: D3E10040 0D037D6E
	v_mfma_f32_16x16x16_bf16 v[68:71], a[96:97], v[240:241], v[68:71]// 0000000059E8: D3E10044 0D13E160
	v_mfma_f32_16x16x16_bf16 v[68:71], a[98:99], v[242:243], v[68:71]// 0000000059F0: D3E10044 0D13E562
	buffer_load_dwordx4 a[232:235], v24, s[12:15], 0 offen offset:2048// 0000000059F8: E05C1800 8083E818
	v_mfma_f32_16x16x16_bf16 v[68:71], a[100:101], v[244:245], v[68:71]// 000000005A00: D3E10044 0D13E964
	v_mfma_f32_16x16x16_bf16 v[68:71], a[102:103], v[246:247], v[68:71]// 000000005A08: D3E10044 0D13ED66
	v_mfma_f32_16x16x16_bf16 v[68:71], a[104:105], v[248:249], v[68:71]// 000000005A10: D3E10044 0D13F168
	v_mfma_f32_16x16x16_bf16 v[68:71], a[106:107], v[250:251], v[68:71]// 000000005A18: D3E10044 0D13F56A
	buffer_load_dwordx4 a[236:239], v24, s[12:15], 0 offen offset:3072// 000000005A20: E05C1C00 8083EC18
	v_mfma_f32_16x16x16_bf16 v[68:71], a[108:109], v[252:253], v[68:71]// 000000005A28: D3E10044 0D13F96C
	v_mfma_f32_16x16x16_bf16 v[68:71], a[110:111], v[254:255], v[68:71]// 000000005A30: D3E10044 0D13FD6E
	s_mov_b64 exec, s[28:29]                                   // 000000005A38: BEFE011C
	global_atomic_pk_add_f16 v46, v16, s[8:9]                  // 000000005A3C: DD388000 0008102E
	s_mov_b64 exec, s[38:39]                                   // 000000005A44: BEFE0126
	v_mfma_f32_16x16x16_bf16 v[72:75], a[112:113], v[176:177], v[72:75]// 000000005A48: D3E10048 0D236170
	v_mfma_f32_16x16x16_bf16 v[72:75], a[114:115], v[178:179], v[72:75]// 000000005A50: D3E10048 0D236572
	buffer_load_dwordx4 a[240:243], v25, s[12:15], 0 offen     // 000000005A58: E05C1000 8083F019
	v_mfma_f32_16x16x16_bf16 v[72:75], a[116:117], v[180:181], v[72:75]// 000000005A60: D3E10048 0D236974
	v_mfma_f32_16x16x16_bf16 v[72:75], a[118:119], v[182:183], v[72:75]// 000000005A68: D3E10048 0D236D76
	v_mfma_f32_16x16x16_bf16 v[72:75], a[120:121], v[184:185], v[72:75]// 000000005A70: D3E10048 0D237178
	v_mfma_f32_16x16x16_bf16 v[72:75], a[122:123], v[186:187], v[72:75]// 000000005A78: D3E10048 0D23757A
	buffer_load_dwordx4 a[244:247], v25, s[12:15], 0 offen offset:1024// 000000005A80: E05C1400 8083F419
	v_mfma_f32_16x16x16_bf16 v[72:75], a[124:125], v[188:189], v[72:75]// 000000005A88: D3E10048 0D23797C
	v_mfma_f32_16x16x16_bf16 v[72:75], a[126:127], v[190:191], v[72:75]// 000000005A90: D3E10048 0D237D7E
	v_mfma_f32_16x16x16_bf16 v[76:79], a[112:113], v[240:241], v[76:79]// 000000005A98: D3E1004C 0D33E170
	v_mfma_f32_16x16x16_bf16 v[76:79], a[114:115], v[242:243], v[76:79]// 000000005AA0: D3E1004C 0D33E572
	buffer_load_dwordx4 a[248:251], v25, s[12:15], 0 offen offset:2048// 000000005AA8: E05C1800 8083F819
	v_mfma_f32_16x16x16_bf16 v[76:79], a[116:117], v[244:245], v[76:79]// 000000005AB0: D3E1004C 0D33E974
	v_mfma_f32_16x16x16_bf16 v[76:79], a[118:119], v[246:247], v[76:79]// 000000005AB8: D3E1004C 0D33ED76
	v_mfma_f32_16x16x16_bf16 v[76:79], a[120:121], v[248:249], v[76:79]// 000000005AC0: D3E1004C 0D33F178
	v_mfma_f32_16x16x16_bf16 v[76:79], a[122:123], v[250:251], v[76:79]// 000000005AC8: D3E1004C 0D33F57A
	buffer_load_dwordx4 a[252:255], v25, s[12:15], 0 offen offset:3072// 000000005AD0: E05C1C00 8083FC19
	v_mfma_f32_16x16x16_bf16 v[76:79], a[124:125], v[252:253], v[76:79]// 000000005AD8: D3E1004C 0D33F97C
	s_add_u32 s12, s56, s12                                    // 000000005AE0: 800C0C38
	s_addc_u32 s13, 0, s13                                     // 000000005AE4: 820D0D80
	v_mfma_f32_16x16x16_bf16 v[76:79], a[126:127], v[254:255], v[76:79]// 000000005AE8: D3E1004C 0D33FD7E
	s_mov_b64 exec, s[30:31]                                   // 000000005AF0: BEFE011E
	global_atomic_pk_add_f16 v48, v17, s[8:9]                  // 000000005AF4: DD388000 00081130
	s_mov_b64 exec, s[38:39]                                   // 000000005AFC: BEFE0126
	s_add_u32 s8, s59, s8                                      // 000000005B00: 8008083B
	s_addc_u32 s9, 0, s9                                       // 000000005B04: 82090980
	v_mul_f32_e32 v64, v8, v64                                 // 000000005B08: 0A808108
	v_mul_f32_e32 v65, v8, v65                                 // 000000005B0C: 0A828308
	v_mul_f32_e32 v66, v8, v66                                 // 000000005B10: 0A848508
	v_mul_f32_e32 v67, v8, v67                                 // 000000005B14: 0A868708
	v_mul_f32_e32 v68, v9, v68                                 // 000000005B18: 0A888909
	v_mul_f32_e32 v69, v9, v69                                 // 000000005B1C: 0A8A8B09
	v_mul_f32_e32 v70, v9, v70                                 // 000000005B20: 0A8C8D09
	v_mul_f32_e32 v71, v9, v71                                 // 000000005B24: 0A8E8F09
	v_mul_f32_e32 v72, v8, v72                                 // 000000005B28: 0A909108
	v_mul_f32_e32 v73, v8, v73                                 // 000000005B2C: 0A929308
	v_mul_f32_e32 v74, v8, v74                                 // 000000005B30: 0A949508
	v_mul_f32_e32 v75, v8, v75                                 // 000000005B34: 0A969708
	v_mul_f32_e32 v76, v9, v76                                 // 000000005B38: 0A989909
	v_mul_f32_e32 v77, v9, v77                                 // 000000005B3C: 0A9A9B09
	v_mul_f32_e32 v78, v9, v78                                 // 000000005B40: 0A9C9D09
	v_mul_f32_e32 v79, v9, v79                                 // 000000005B44: 0A9E9F09
	v_cvt_pkrtz_f16_f32 v64, v64, v65                          // 000000005B48: D2960040 00028340
	v_cvt_pkrtz_f16_f32 v65, v66, v67                          // 000000005B50: D2960041 00028742
	v_cvt_pkrtz_f16_f32 v66, v68, v69                          // 000000005B58: D2960042 00028B44
	v_cvt_pkrtz_f16_f32 v67, v70, v71                          // 000000005B60: D2960043 00028F46
	v_cvt_pkrtz_f16_f32 v68, v72, v73                          // 000000005B68: D2960044 00029348
	v_cvt_pkrtz_f16_f32 v69, v74, v75                          // 000000005B70: D2960045 0002974A
	v_cvt_pkrtz_f16_f32 v70, v76, v77                          // 000000005B78: D2960046 00029B4C
	v_cvt_pkrtz_f16_f32 v71, v78, v79                          // 000000005B80: D2960047 00029F4E
	s_addk_i32 s80, 0x80                                       // 000000005B88: B7500080
	s_cmp_lt_i32 s80, s81                                      // 000000005B8C: BF045150
	s_cbranch_scc0 label_0D15                                  // 000000005B90: BF8401B0
	s_waitcnt vmcnt(30) lgkmcnt(0)                             // 000000005B94: BF8C407E
	s_barrier                                                  // 000000005B98: BF8A0000
	v_mfma_f32_16x16x16_bf16 v[80:83], a[128:129], v[128:129], 0// 000000005B9C: D3E10050 0A030180
	ds_read_b32 v10, v4 offset:25344                           // 000000005BA4: D86C6300 0A000004
	ds_read_b32 v11, v4 offset:25376                           // 000000005BAC: D86C6320 0B000004
	v_mfma_f32_16x16x16_bf16 v[80:83], a[130:131], v[130:131], v[80:83]// 000000005BB4: D3E10050 0D430582
	buffer_load_dwordx4 a[0:3], v18, s[12:15], 0 offen         // 000000005BBC: E05C1000 80830012
	v_mfma_f32_16x16x16_bf16 v[80:83], a[132:133], v[132:133], v[80:83]// 000000005BC4: D3E10050 0D430984
	ds_read_b32 v12, v4 offset:25408                           // 000000005BCC: D86C6340 0C000004
	ds_read_b32 v13, v4 offset:25440                           // 000000005BD4: D86C6360 0D000004
	v_mfma_f32_16x16x16_bf16 v[80:83], a[134:135], v[134:135], v[80:83]// 000000005BDC: D3E10050 0D430D86
	v_mfma_f32_16x16x16_bf16 v[80:83], a[136:137], v[136:137], v[80:83]// 000000005BE4: D3E10050 0D431188
	ds_read_b32 v14, v4 offset:29696                           // 000000005BEC: D86C7400 0E000004
	ds_read_b32 v15, v4 offset:29728                           // 000000005BF4: D86C7420 0F000004
	v_mfma_f32_16x16x16_bf16 v[80:83], a[138:139], v[138:139], v[80:83]// 000000005BFC: D3E10050 0D43158A
	buffer_load_dwordx4 a[4:7], v18, s[12:15], 0 offen offset:1024// 000000005C04: E05C1400 80830412
	v_mfma_f32_16x16x16_bf16 v[80:83], a[140:141], v[140:141], v[80:83]// 000000005C0C: D3E10050 0D43198C
	ds_read_b32 v16, v4 offset:29760                           // 000000005C14: D86C7440 10000004
	ds_read_b32 v17, v4 offset:29792                           // 000000005C1C: D86C7460 11000004
	v_mfma_f32_16x16x16_bf16 v[80:83], a[142:143], v[142:143], v[80:83]// 000000005C24: D3E10050 0D431D8E
	v_mfma_f32_16x16x16_bf16 v[84:87], a[128:129], v[192:193], 0// 000000005C2C: D3E10054 0A038180
	v_mfma_f32_16x16x16_bf16 v[84:87], a[130:131], v[194:195], v[84:87]// 000000005C34: D3E10054 0D538582
	buffer_load_dwordx4 a[8:11], v18, s[12:15], 0 offen offset:2048// 000000005C3C: E05C1800 80830812
	v_mfma_f32_16x16x16_bf16 v[84:87], a[132:133], v[196:197], v[84:87]// 000000005C44: D3E10054 0D538984
	v_mfma_f32_16x16x16_bf16 v[84:87], a[134:135], v[198:199], v[84:87]// 000000005C4C: D3E10054 0D538D86
	v_mfma_f32_16x16x16_bf16 v[84:87], a[136:137], v[200:201], v[84:87]// 000000005C54: D3E10054 0D539188
	v_mfma_f32_16x16x16_bf16 v[84:87], a[138:139], v[202:203], v[84:87]// 000000005C5C: D3E10054 0D53958A
	buffer_load_dwordx4 a[12:15], v18, s[12:15], 0 offen offset:3072// 000000005C64: E05C1C00 80830C12
	v_mfma_f32_16x16x16_bf16 v[84:87], a[140:141], v[204:205], v[84:87]// 000000005C6C: D3E10054 0D53998C
	v_mfma_f32_16x16x16_bf16 v[84:87], a[142:143], v[206:207], v[84:87]// 000000005C74: D3E10054 0D539D8E
	s_waitcnt lgkmcnt(0)                                       // 000000005C7C: BF8CC07F
	s_mov_b64 exec, s[16:17]                                   // 000000005C80: BEFE0110
	global_atomic_pk_add_f16 v34, v10, s[8:9]                  // 000000005C84: DD388000 00080A22
	s_mov_b64 exec, s[38:39]                                   // 000000005C8C: BEFE0126
	v_mfma_f32_16x16x16_bf16 v[88:91], a[144:145], v[128:129], 0// 000000005C90: D3E10058 0A030190
	v_mfma_f32_16x16x16_bf16 v[88:91], a[146:147], v[130:131], v[88:91]// 000000005C98: D3E10058 0D630592
	buffer_load_dwordx4 a[16:19], v19, s[12:15], 0 offen       // 000000005CA0: E05C1000 80831013
	v_mfma_f32_16x16x16_bf16 v[88:91], a[148:149], v[132:133], v[88:91]// 000000005CA8: D3E10058 0D630994
	v_mfma_f32_16x16x16_bf16 v[88:91], a[150:151], v[134:135], v[88:91]// 000000005CB0: D3E10058 0D630D96
	v_mfma_f32_16x16x16_bf16 v[88:91], a[152:153], v[136:137], v[88:91]// 000000005CB8: D3E10058 0D631198
	v_mfma_f32_16x16x16_bf16 v[88:91], a[154:155], v[138:139], v[88:91]// 000000005CC0: D3E10058 0D63159A
	buffer_load_dwordx4 a[20:23], v19, s[12:15], 0 offen offset:1024// 000000005CC8: E05C1400 80831413
	v_mfma_f32_16x16x16_bf16 v[88:91], a[156:157], v[140:141], v[88:91]// 000000005CD0: D3E10058 0D63199C
	v_mfma_f32_16x16x16_bf16 v[88:91], a[158:159], v[142:143], v[88:91]// 000000005CD8: D3E10058 0D631D9E
	v_mfma_f32_16x16x16_bf16 v[92:95], a[144:145], v[192:193], 0// 000000005CE0: D3E1005C 0A038190
	v_mfma_f32_16x16x16_bf16 v[92:95], a[146:147], v[194:195], v[92:95]// 000000005CE8: D3E1005C 0D738592
	buffer_load_dwordx4 a[24:27], v19, s[12:15], 0 offen offset:2048// 000000005CF0: E05C1800 80831813
	v_mfma_f32_16x16x16_bf16 v[92:95], a[148:149], v[196:197], v[92:95]// 000000005CF8: D3E1005C 0D738994
	v_mfma_f32_16x16x16_bf16 v[92:95], a[150:151], v[198:199], v[92:95]// 000000005D00: D3E1005C 0D738D96
	v_mfma_f32_16x16x16_bf16 v[92:95], a[152:153], v[200:201], v[92:95]// 000000005D08: D3E1005C 0D739198
	v_mfma_f32_16x16x16_bf16 v[92:95], a[154:155], v[202:203], v[92:95]// 000000005D10: D3E1005C 0D73959A
	buffer_load_dwordx4 a[28:31], v19, s[12:15], 0 offen offset:3072// 000000005D18: E05C1C00 80831C13
	v_mfma_f32_16x16x16_bf16 v[92:95], a[156:157], v[204:205], v[92:95]// 000000005D20: D3E1005C 0D73999C
	v_mfma_f32_16x16x16_bf16 v[92:95], a[158:159], v[206:207], v[92:95]// 000000005D28: D3E1005C 0D739D9E
	s_mov_b64 exec, s[18:19]                                   // 000000005D30: BEFE0112
	global_atomic_pk_add_f16 v36, v11, s[8:9]                  // 000000005D34: DD388000 00080B24
	s_mov_b64 exec, s[38:39]                                   // 000000005D3C: BEFE0126
	s_waitcnt vmcnt(30)                                        // 000000005D40: BF8C4F7E
	v_mfma_f32_16x16x16_bf16 v[80:83], a[160:161], v[144:145], v[80:83]// 000000005D44: D3E10050 0D4321A0
	ds_write_b64 v3, v[64:65] offset:16640                     // 000000005D4C: D89A4100 00004003
	v_mfma_f32_16x16x16_bf16 v[80:83], a[162:163], v[146:147], v[80:83]// 000000005D54: D3E10050 0D4325A2
	buffer_load_dwordx4 a[32:35], v20, s[12:15], 0 offen       // 000000005D5C: E05C1000 80832014
	v_mfma_f32_16x16x16_bf16 v[80:83], a[164:165], v[148:149], v[80:83]// 000000005D64: D3E10050 0D4329A4
	ds_write_b64 v3, v[66:67] offset:20992                     // 000000005D6C: D89A5200 00004203
	v_mfma_f32_16x16x16_bf16 v[80:83], a[166:167], v[150:151], v[80:83]// 000000005D74: D3E10050 0D432DA6
	v_mfma_f32_16x16x16_bf16 v[80:83], a[168:169], v[152:153], v[80:83]// 000000005D7C: D3E10050 0D4331A8
	ds_write_b64 v3, v[68:69] offset:18816                     // 000000005D84: D89A4980 00004403
	v_mfma_f32_16x16x16_bf16 v[80:83], a[170:171], v[154:155], v[80:83]// 000000005D8C: D3E10050 0D4335AA
	buffer_load_dwordx4 a[36:39], v20, s[12:15], 0 offen offset:1024// 000000005D94: E05C1400 80832414
	v_mfma_f32_16x16x16_bf16 v[80:83], a[172:173], v[156:157], v[80:83]// 000000005D9C: D3E10050 0D4339AC
	ds_write_b64 v3, v[70:71] offset:23168                     // 000000005DA4: D89A5A80 00004603
	v_mfma_f32_16x16x16_bf16 v[80:83], a[174:175], v[158:159], v[80:83]// 000000005DAC: D3E10050 0D433DAE
	v_mfma_f32_16x16x16_bf16 v[84:87], a[160:161], v[208:209], v[84:87]// 000000005DB4: D3E10054 0D53A1A0
	v_mfma_f32_16x16x16_bf16 v[84:87], a[162:163], v[210:211], v[84:87]// 000000005DBC: D3E10054 0D53A5A2
	buffer_load_dwordx4 a[40:43], v20, s[12:15], 0 offen offset:2048// 000000005DC4: E05C1800 80832814
	v_mfma_f32_16x16x16_bf16 v[84:87], a[164:165], v[212:213], v[84:87]// 000000005DCC: D3E10054 0D53A9A4
	v_mfma_f32_16x16x16_bf16 v[84:87], a[166:167], v[214:215], v[84:87]// 000000005DD4: D3E10054 0D53ADA6
	v_mfma_f32_16x16x16_bf16 v[84:87], a[168:169], v[216:217], v[84:87]// 000000005DDC: D3E10054 0D53B1A8
	v_mfma_f32_16x16x16_bf16 v[84:87], a[170:171], v[218:219], v[84:87]// 000000005DE4: D3E10054 0D53B5AA
	buffer_load_dwordx4 a[44:47], v20, s[12:15], 0 offen offset:3072// 000000005DEC: E05C1C00 80832C14
	v_mfma_f32_16x16x16_bf16 v[84:87], a[172:173], v[220:221], v[84:87]// 000000005DF4: D3E10054 0D53B9AC
	v_mfma_f32_16x16x16_bf16 v[84:87], a[174:175], v[222:223], v[84:87]// 000000005DFC: D3E10054 0D53BDAE
	s_mov_b64 exec, s[20:21]                                   // 000000005E04: BEFE0114
	global_atomic_pk_add_f16 v38, v12, s[8:9]                  // 000000005E08: DD388000 00080C26
	s_mov_b64 exec, s[38:39]                                   // 000000005E10: BEFE0126
	v_mfma_f32_16x16x16_bf16 v[88:91], a[176:177], v[144:145], v[88:91]// 000000005E14: D3E10058 0D6321B0
	v_mfma_f32_16x16x16_bf16 v[88:91], a[178:179], v[146:147], v[88:91]// 000000005E1C: D3E10058 0D6325B2
	buffer_load_dwordx4 a[48:51], v21, s[12:15], 0 offen       // 000000005E24: E05C1000 80833015
	v_mfma_f32_16x16x16_bf16 v[88:91], a[180:181], v[148:149], v[88:91]// 000000005E2C: D3E10058 0D6329B4
	v_mfma_f32_16x16x16_bf16 v[88:91], a[182:183], v[150:151], v[88:91]// 000000005E34: D3E10058 0D632DB6
	v_mfma_f32_16x16x16_bf16 v[88:91], a[184:185], v[152:153], v[88:91]// 000000005E3C: D3E10058 0D6331B8
	v_mfma_f32_16x16x16_bf16 v[88:91], a[186:187], v[154:155], v[88:91]// 000000005E44: D3E10058 0D6335BA
	buffer_load_dwordx4 a[52:55], v21, s[12:15], 0 offen offset:1024// 000000005E4C: E05C1400 80833415
	v_mfma_f32_16x16x16_bf16 v[88:91], a[188:189], v[156:157], v[88:91]// 000000005E54: D3E10058 0D6339BC
	v_mfma_f32_16x16x16_bf16 v[88:91], a[190:191], v[158:159], v[88:91]// 000000005E5C: D3E10058 0D633DBE
	v_mfma_f32_16x16x16_bf16 v[92:95], a[176:177], v[208:209], v[92:95]// 000000005E64: D3E1005C 0D73A1B0
	v_mfma_f32_16x16x16_bf16 v[92:95], a[178:179], v[210:211], v[92:95]// 000000005E6C: D3E1005C 0D73A5B2
	buffer_load_dwordx4 a[56:59], v21, s[12:15], 0 offen offset:2048// 000000005E74: E05C1800 80833815
	v_mfma_f32_16x16x16_bf16 v[92:95], a[180:181], v[212:213], v[92:95]// 000000005E7C: D3E1005C 0D73A9B4
	v_mfma_f32_16x16x16_bf16 v[92:95], a[182:183], v[214:215], v[92:95]// 000000005E84: D3E1005C 0D73ADB6
	v_mfma_f32_16x16x16_bf16 v[92:95], a[184:185], v[216:217], v[92:95]// 000000005E8C: D3E1005C 0D73B1B8
	v_mfma_f32_16x16x16_bf16 v[92:95], a[186:187], v[218:219], v[92:95]// 000000005E94: D3E1005C 0D73B5BA
	buffer_load_dwordx4 a[60:63], v21, s[12:15], 0 offen offset:3072// 000000005E9C: E05C1C00 80833C15
	v_mfma_f32_16x16x16_bf16 v[92:95], a[188:189], v[220:221], v[92:95]// 000000005EA4: D3E1005C 0D73B9BC
	v_mfma_f32_16x16x16_bf16 v[92:95], a[190:191], v[222:223], v[92:95]// 000000005EAC: D3E1005C 0D73BDBE
	s_mov_b64 exec, s[22:23]                                   // 000000005EB4: BEFE0116
	global_atomic_pk_add_f16 v40, v13, s[8:9]                  // 000000005EB8: DD388000 00080D28
	s_mov_b64 exec, s[38:39]                                   // 000000005EC0: BEFE0126
	s_waitcnt vmcnt(30)                                        // 000000005EC4: BF8C4F7E
	v_mfma_f32_16x16x16_bf16 v[80:83], a[192:193], v[160:161], v[80:83]// 000000005EC8: D3E10050 0D4341C0
	v_mfma_f32_16x16x16_bf16 v[80:83], a[194:195], v[162:163], v[80:83]// 000000005ED0: D3E10050 0D4345C2
	buffer_load_dwordx4 a[64:67], v22, s[12:15], 0 offen       // 000000005ED8: E05C1000 80834016
	v_mfma_f32_16x16x16_bf16 v[80:83], a[196:197], v[164:165], v[80:83]// 000000005EE0: D3E10050 0D4349C4
	s_add_u32 s60, 0x100, s80                                  // 000000005EE8: 803C50FF 00000100
	s_cmp_lt_u32 s60, s81                                      // 000000005EF0: BF0A513C
	s_cselect_b32 s56, s56, 0                                  // 000000005EF4: 85388038
	v_mfma_f32_16x16x16_bf16 v[80:83], a[198:199], v[166:167], v[80:83]// 000000005EF8: D3E10050 0D434DC6
	v_mfma_f32_16x16x16_bf16 v[80:83], a[200:201], v[168:169], v[80:83]// 000000005F00: D3E10050 0D4351C8
	v_mfma_f32_16x16x16_bf16 v[80:83], a[202:203], v[170:171], v[80:83]// 000000005F08: D3E10050 0D4355CA
	buffer_load_dwordx4 a[68:71], v22, s[12:15], 0 offen offset:1024// 000000005F10: E05C1400 80834416
	v_mfma_f32_16x16x16_bf16 v[80:83], a[204:205], v[172:173], v[80:83]// 000000005F18: D3E10050 0D4359CC
	s_cmp_ge_u32 s80, 0x100                                    // 000000005F20: BF09FF50 00000100
	s_cselect_b32 s59, 0x100, s59                              // 000000005F28: 853B3BFF 00000100
	v_mfma_f32_16x16x16_bf16 v[80:83], a[206:207], v[174:175], v[80:83]// 000000005F30: D3E10050 0D435DCE
	v_mfma_f32_16x16x16_bf16 v[84:87], a[192:193], v[224:225], v[84:87]// 000000005F38: D3E10054 0D53C1C0
	v_mfma_f32_16x16x16_bf16 v[84:87], a[194:195], v[226:227], v[84:87]// 000000005F40: D3E10054 0D53C5C2
	buffer_load_dwordx4 a[72:75], v22, s[12:15], 0 offen offset:2048// 000000005F48: E05C1800 80834816
	v_mfma_f32_16x16x16_bf16 v[84:87], a[196:197], v[228:229], v[84:87]// 000000005F50: D3E10054 0D53C9C4
	s_add_u32 s16, s57, s16                                    // 000000005F58: 80101039
	s_addc_u32 s17, 0, s17                                     // 000000005F5C: 82111180
	v_mfma_f32_16x16x16_bf16 v[84:87], a[198:199], v[230:231], v[84:87]// 000000005F60: D3E10054 0D53CDC6
	v_mfma_f32_16x16x16_bf16 v[84:87], a[200:201], v[232:233], v[84:87]// 000000005F68: D3E10054 0D53D1C8
	v_mfma_f32_16x16x16_bf16 v[84:87], a[202:203], v[234:235], v[84:87]// 000000005F70: D3E10054 0D53D5CA
	buffer_load_dwordx4 a[76:79], v22, s[12:15], 0 offen offset:3072// 000000005F78: E05C1C00 80834C16
	v_mfma_f32_16x16x16_bf16 v[84:87], a[204:205], v[236:237], v[84:87]// 000000005F80: D3E10054 0D53D9CC
	v_mfma_f32_16x16x16_bf16 v[84:87], a[206:207], v[238:239], v[84:87]// 000000005F88: D3E10054 0D53DDCE
	s_mov_b64 exec, s[24:25]                                   // 000000005F90: BEFE0118
	global_atomic_pk_add_f16 v42, v14, s[8:9]                  // 000000005F94: DD388000 00080E2A
	s_mov_b64 exec, s[38:39]                                   // 000000005F9C: BEFE0126
	v_mfma_f32_16x16x16_bf16 v[88:91], a[208:209], v[160:161], v[88:91]// 000000005FA0: D3E10058 0D6341D0
	v_mfma_f32_16x16x16_bf16 v[88:91], a[210:211], v[162:163], v[88:91]// 000000005FA8: D3E10058 0D6345D2
	buffer_load_dwordx4 a[80:83], v23, s[12:15], 0 offen       // 000000005FB0: E05C1000 80835017
	v_mfma_f32_16x16x16_bf16 v[88:91], a[212:213], v[164:165], v[88:91]// 000000005FB8: D3E10058 0D6349D4
	v_mfma_f32_16x16x16_bf16 v[88:91], a[214:215], v[166:167], v[88:91]// 000000005FC0: D3E10058 0D634DD6
	v_mfma_f32_16x16x16_bf16 v[88:91], a[216:217], v[168:169], v[88:91]// 000000005FC8: D3E10058 0D6351D8
	v_mfma_f32_16x16x16_bf16 v[88:91], a[218:219], v[170:171], v[88:91]// 000000005FD0: D3E10058 0D6355DA
	buffer_load_dwordx4 a[84:87], v23, s[12:15], 0 offen offset:1024// 000000005FD8: E05C1400 80835417
	v_mfma_f32_16x16x16_bf16 v[88:91], a[220:221], v[172:173], v[88:91]// 000000005FE0: D3E10058 0D6359DC
	v_mfma_f32_16x16x16_bf16 v[88:91], a[222:223], v[174:175], v[88:91]// 000000005FE8: D3E10058 0D635DDE
	v_mfma_f32_16x16x16_bf16 v[92:95], a[208:209], v[224:225], v[92:95]// 000000005FF0: D3E1005C 0D73C1D0
	v_mfma_f32_16x16x16_bf16 v[92:95], a[210:211], v[226:227], v[92:95]// 000000005FF8: D3E1005C 0D73C5D2
	buffer_load_dwordx4 a[88:91], v23, s[12:15], 0 offen offset:2048// 000000006000: E05C1800 80835817
	v_mfma_f32_16x16x16_bf16 v[92:95], a[212:213], v[228:229], v[92:95]// 000000006008: D3E1005C 0D73C9D4
	v_mfma_f32_16x16x16_bf16 v[92:95], a[214:215], v[230:231], v[92:95]// 000000006010: D3E1005C 0D73CDD6
	v_mfma_f32_16x16x16_bf16 v[92:95], a[216:217], v[232:233], v[92:95]// 000000006018: D3E1005C 0D73D1D8
	v_mfma_f32_16x16x16_bf16 v[92:95], a[218:219], v[234:235], v[92:95]// 000000006020: D3E1005C 0D73D5DA
	buffer_load_dwordx4 a[92:95], v23, s[12:15], 0 offen offset:3072// 000000006028: E05C1C00 80835C17
	v_mfma_f32_16x16x16_bf16 v[92:95], a[220:221], v[236:237], v[92:95]// 000000006030: D3E1005C 0D73D9DC
	v_mfma_f32_16x16x16_bf16 v[92:95], a[222:223], v[238:239], v[92:95]// 000000006038: D3E1005C 0D73DDDE
	s_mov_b64 exec, s[26:27]                                   // 000000006040: BEFE011A
	global_atomic_pk_add_f16 v44, v15, s[8:9]                  // 000000006044: DD388000 00080F2C
	s_mov_b64 exec, s[38:39]                                   // 00000000604C: BEFE0126
	s_waitcnt vmcnt(30)                                        // 000000006050: BF8C4F7E
	v_mfma_f32_16x16x16_bf16 v[80:83], a[224:225], v[176:177], v[80:83]// 000000006054: D3E10050 0D4361E0
	v_mfma_f32_16x16x16_bf16 v[80:83], a[226:227], v[178:179], v[80:83]// 00000000605C: D3E10050 0D4365E2
	buffer_load_dwordx4 a[96:99], v24, s[12:15], 0 offen       // 000000006064: E05C1000 80836018
	v_mfma_f32_16x16x16_bf16 v[80:83], a[228:229], v[180:181], v[80:83]// 00000000606C: D3E10050 0D4369E4
	v_mfma_f32_16x16x16_bf16 v[80:83], a[230:231], v[182:183], v[80:83]// 000000006074: D3E10050 0D436DE6
	v_mfma_f32_16x16x16_bf16 v[80:83], a[232:233], v[184:185], v[80:83]// 00000000607C: D3E10050 0D4371E8
	v_mfma_f32_16x16x16_bf16 v[80:83], a[234:235], v[186:187], v[80:83]// 000000006084: D3E10050 0D4375EA
	buffer_load_dwordx4 a[100:103], v24, s[12:15], 0 offen offset:1024// 00000000608C: E05C1400 80836418
	v_mfma_f32_16x16x16_bf16 v[80:83], a[236:237], v[188:189], v[80:83]// 000000006094: D3E10050 0D4379EC
	v_mfma_f32_16x16x16_bf16 v[80:83], a[238:239], v[190:191], v[80:83]// 00000000609C: D3E10050 0D437DEE
	v_mfma_f32_16x16x16_bf16 v[84:87], a[224:225], v[240:241], v[84:87]// 0000000060A4: D3E10054 0D53E1E0
	v_mfma_f32_16x16x16_bf16 v[84:87], a[226:227], v[242:243], v[84:87]// 0000000060AC: D3E10054 0D53E5E2
	buffer_load_dwordx4 a[104:107], v24, s[12:15], 0 offen offset:2048// 0000000060B4: E05C1800 80836818
	v_mfma_f32_16x16x16_bf16 v[84:87], a[228:229], v[244:245], v[84:87]// 0000000060BC: D3E10054 0D53E9E4
	v_mfma_f32_16x16x16_bf16 v[84:87], a[230:231], v[246:247], v[84:87]// 0000000060C4: D3E10054 0D53EDE6
	v_mfma_f32_16x16x16_bf16 v[84:87], a[232:233], v[248:249], v[84:87]// 0000000060CC: D3E10054 0D53F1E8
	v_mfma_f32_16x16x16_bf16 v[84:87], a[234:235], v[250:251], v[84:87]// 0000000060D4: D3E10054 0D53F5EA
	buffer_load_dwordx4 a[108:111], v24, s[12:15], 0 offen offset:3072// 0000000060DC: E05C1C00 80836C18
	v_mfma_f32_16x16x16_bf16 v[84:87], a[236:237], v[252:253], v[84:87]// 0000000060E4: D3E10054 0D53F9EC
	v_mfma_f32_16x16x16_bf16 v[84:87], a[238:239], v[254:255], v[84:87]// 0000000060EC: D3E10054 0D53FDEE
	s_mov_b64 exec, s[28:29]                                   // 0000000060F4: BEFE011C
	global_atomic_pk_add_f16 v46, v16, s[8:9]                  // 0000000060F8: DD388000 0008102E
	s_mov_b64 exec, s[38:39]                                   // 000000006100: BEFE0126
	v_mfma_f32_16x16x16_bf16 v[88:91], a[240:241], v[176:177], v[88:91]// 000000006104: D3E10058 0D6361F0
	v_mfma_f32_16x16x16_bf16 v[88:91], a[242:243], v[178:179], v[88:91]// 00000000610C: D3E10058 0D6365F2
	buffer_load_dwordx4 a[112:115], v25, s[12:15], 0 offen     // 000000006114: E05C1000 80837019
	v_mfma_f32_16x16x16_bf16 v[88:91], a[244:245], v[180:181], v[88:91]// 00000000611C: D3E10058 0D6369F4
	v_mfma_f32_16x16x16_bf16 v[88:91], a[246:247], v[182:183], v[88:91]// 000000006124: D3E10058 0D636DF6
	v_mfma_f32_16x16x16_bf16 v[88:91], a[248:249], v[184:185], v[88:91]// 00000000612C: D3E10058 0D6371F8
	v_mfma_f32_16x16x16_bf16 v[88:91], a[250:251], v[186:187], v[88:91]// 000000006134: D3E10058 0D6375FA
	buffer_load_dwordx4 a[116:119], v25, s[12:15], 0 offen offset:1024// 00000000613C: E05C1400 80837419
	v_mfma_f32_16x16x16_bf16 v[88:91], a[252:253], v[188:189], v[88:91]// 000000006144: D3E10058 0D6379FC
	v_mfma_f32_16x16x16_bf16 v[88:91], a[254:255], v[190:191], v[88:91]// 00000000614C: D3E10058 0D637DFE
	v_mfma_f32_16x16x16_bf16 v[92:95], a[240:241], v[240:241], v[92:95]// 000000006154: D3E1005C 0D73E1F0
	v_mfma_f32_16x16x16_bf16 v[92:95], a[242:243], v[242:243], v[92:95]// 00000000615C: D3E1005C 0D73E5F2
	buffer_load_dwordx4 a[120:123], v25, s[12:15], 0 offen offset:2048// 000000006164: E05C1800 80837819
	v_mfma_f32_16x16x16_bf16 v[92:95], a[244:245], v[244:245], v[92:95]// 00000000616C: D3E1005C 0D73E9F4
	v_mfma_f32_16x16x16_bf16 v[92:95], a[246:247], v[246:247], v[92:95]// 000000006174: D3E1005C 0D73EDF6
	v_mfma_f32_16x16x16_bf16 v[92:95], a[248:249], v[248:249], v[92:95]// 00000000617C: D3E1005C 0D73F1F8
	v_mfma_f32_16x16x16_bf16 v[92:95], a[250:251], v[250:251], v[92:95]// 000000006184: D3E1005C 0D73F5FA
	buffer_load_dwordx4 a[124:127], v25, s[12:15], 0 offen offset:3072// 00000000618C: E05C1C00 80837C19
	v_mfma_f32_16x16x16_bf16 v[92:95], a[252:253], v[252:253], v[92:95]// 000000006194: D3E1005C 0D73F9FC
	s_add_u32 s12, s56, s12                                    // 00000000619C: 800C0C38
	s_addc_u32 s13, 0, s13                                     // 0000000061A0: 820D0D80
	v_mfma_f32_16x16x16_bf16 v[92:95], a[254:255], v[254:255], v[92:95]// 0000000061A4: D3E1005C 0D73FDFE
	s_mov_b64 exec, s[30:31]                                   // 0000000061AC: BEFE011E
	global_atomic_pk_add_f16 v48, v17, s[8:9]                  // 0000000061B0: DD388000 00081130
	s_mov_b64 exec, s[38:39]                                   // 0000000061B8: BEFE0126
	s_add_u32 s8, s59, s8                                      // 0000000061BC: 8008083B
	s_addc_u32 s9, 0, s9                                       // 0000000061C0: 82090980
	v_mul_f32_e32 v80, v8, v80                                 // 0000000061C4: 0AA0A108
	v_mul_f32_e32 v81, v8, v81                                 // 0000000061C8: 0AA2A308
	v_mul_f32_e32 v82, v8, v82                                 // 0000000061CC: 0AA4A508
	v_mul_f32_e32 v83, v8, v83                                 // 0000000061D0: 0AA6A708
	v_mul_f32_e32 v84, v9, v84                                 // 0000000061D4: 0AA8A909
	v_mul_f32_e32 v85, v9, v85                                 // 0000000061D8: 0AAAAB09
	v_mul_f32_e32 v86, v9, v86                                 // 0000000061DC: 0AACAD09
	v_mul_f32_e32 v87, v9, v87                                 // 0000000061E0: 0AAEAF09
	v_mul_f32_e32 v88, v8, v88                                 // 0000000061E4: 0AB0B108
	v_mul_f32_e32 v89, v8, v89                                 // 0000000061E8: 0AB2B308
	v_mul_f32_e32 v90, v8, v90                                 // 0000000061EC: 0AB4B508
	v_mul_f32_e32 v91, v8, v91                                 // 0000000061F0: 0AB6B708
	v_mul_f32_e32 v92, v9, v92                                 // 0000000061F4: 0AB8B909
	v_mul_f32_e32 v93, v9, v93                                 // 0000000061F8: 0ABABB09
	v_mul_f32_e32 v94, v9, v94                                 // 0000000061FC: 0ABCBD09
	v_mul_f32_e32 v95, v9, v95                                 // 000000006200: 0ABEBF09
	v_cvt_pkrtz_f16_f32 v80, v80, v81                          // 000000006204: D2960050 0002A350
	v_cvt_pkrtz_f16_f32 v81, v82, v83                          // 00000000620C: D2960051 0002A752
	v_cvt_pkrtz_f16_f32 v82, v84, v85                          // 000000006214: D2960052 0002AB54
	v_cvt_pkrtz_f16_f32 v83, v86, v87                          // 00000000621C: D2960053 0002AF56
	v_cvt_pkrtz_f16_f32 v84, v88, v89                          // 000000006224: D2960054 0002B358
	v_cvt_pkrtz_f16_f32 v85, v90, v91                          // 00000000622C: D2960055 0002B75A
	v_cvt_pkrtz_f16_f32 v86, v92, v93                          // 000000006234: D2960056 0002BB5C
	v_cvt_pkrtz_f16_f32 v87, v94, v95                          // 00000000623C: D2960057 0002BF5E
	s_addk_i32 s80, 0x80                                       // 000000006244: B7500080
	s_cmp_lt_i32 s80, s81                                      // 000000006248: BF045150
	s_cbranch_scc0 label_0D15                                  // 00000000624C: BF840001
	s_branch label_09B6                                        // 000000006250: BF82FCA1

0000000000006254 <label_0D15>:
	s_nop 0                                                    // 000000006254: BF800000
	s_nop 0                                                    // 000000006258: BF800000
	s_branch label_181E                                        // 00000000625C: BF820B06

0000000000006260 <label_0D18>:
	s_waitcnt vmcnt(24) lgkmcnt(0)                             // 000000006260: BF8C4078
	s_barrier                                                  // 000000006264: BF8A0000
	v_mfma_f32_16x16x16_bf16 v[128:131], a[0:1], v[64:65], v[128:131]// 000000006268: D3E10080 0E028100
	buffer_load_dwordx4 a[128:131], v26, s[20:23], 0 offen     // 000000006270: E05C1000 8085801A
	v_mfma_f32_16x16x16_bf16 v[128:131], a[2:3], v[66:67], v[128:131]// 000000006278: D3E10080 0E028502
	v_mfma_f32_16x16x16_bf16 v[128:131], a[4:5], v[68:69], v[128:131]// 000000006280: D3E10080 0E028904
	buffer_load_dword v10, s[16:19], 0 offen lds               // 000000006288: E0511000 8004000A
	s_add_u32 m0, 0x100, s36                                   // 000000006290: 807C24FF 00000100
	v_mfma_f32_16x16x16_bf16 v[128:131], a[6:7], v[70:71], v[128:131]// 000000006298: D3E10080 0E028D06
	v_mfma_f32_16x16x16_bf16 v[128:131], a[8:9], v[72:73], v[128:131]// 0000000062A0: D3E10080 0E029108
	buffer_load_dwordx4 a[132:135], v26, s[20:23], 0 offen offset:1024// 0000000062A8: E05C1400 8085841A
	v_mfma_f32_16x16x16_bf16 v[128:131], a[10:11], v[74:75], v[128:131]// 0000000062B0: D3E10080 0E02950A
	v_mfma_f32_16x16x16_bf16 v[128:131], a[12:13], v[76:77], v[128:131]// 0000000062B8: D3E10080 0E02990C
	buffer_load_dword v11, s[16:19], 0 offen lds               // 0000000062C0: E0511000 8004000B
	s_add_u32 m0, 0x200, s36                                   // 0000000062C8: 807C24FF 00000200
	v_mfma_f32_16x16x16_bf16 v[128:131], a[14:15], v[78:79], v[128:131]// 0000000062D0: D3E10080 0E029D0E
	v_mfma_f32_16x16x16_bf16 v[132:135], a[0:1], v[80:81], v[132:135]// 0000000062D8: D3E10084 0E12A100
	buffer_load_dwordx4 a[136:139], v26, s[20:23], 0 offen offset:2048// 0000000062E0: E05C1800 8085881A
	v_mfma_f32_16x16x16_bf16 v[132:135], a[2:3], v[82:83], v[132:135]// 0000000062E8: D3E10084 0E12A502
	v_mfma_f32_16x16x16_bf16 v[132:135], a[4:5], v[84:85], v[132:135]// 0000000062F0: D3E10084 0E12A904
	buffer_load_dword v12, s[16:19], 0 offen lds               // 0000000062F8: E0511000 8004000C
	s_add_u32 m0, 0x300, s36                                   // 000000006300: 807C24FF 00000300
	v_mfma_f32_16x16x16_bf16 v[132:135], a[6:7], v[86:87], v[132:135]// 000000006308: D3E10084 0E12AD06
	v_mfma_f32_16x16x16_bf16 v[132:135], a[8:9], v[88:89], v[132:135]// 000000006310: D3E10084 0E12B108
	buffer_load_dwordx4 a[140:143], v26, s[20:23], 0 offen offset:3072// 000000006318: E05C1C00 80858C1A
	v_mfma_f32_16x16x16_bf16 v[132:135], a[10:11], v[90:91], v[132:135]// 000000006320: D3E10084 0E12B50A
	v_mfma_f32_16x16x16_bf16 v[132:135], a[12:13], v[92:93], v[132:135]// 000000006328: D3E10084 0E12B90C
	buffer_load_dword v13, s[16:19], 0 offen lds               // 000000006330: E0511000 8004000D
	s_add_u32 m0, 0x400, s36                                   // 000000006338: 807C24FF 00000400
	v_mfma_f32_16x16x16_bf16 v[132:135], a[14:15], v[94:95], v[132:135]// 000000006340: D3E10084 0E12BD0E
	v_mfma_f32_16x16x16_bf16 v[136:139], a[16:17], v[64:65], v[136:139]// 000000006348: D3E10088 0E228110
	buffer_load_dwordx4 a[144:147], v27, s[20:23], 0 offen     // 000000006350: E05C1000 8085901B
	v_mfma_f32_16x16x16_bf16 v[136:139], a[18:19], v[66:67], v[136:139]// 000000006358: D3E10088 0E228512
	v_mfma_f32_16x16x16_bf16 v[136:139], a[20:21], v[68:69], v[136:139]// 000000006360: D3E10088 0E228914
	buffer_load_dword v14, s[16:19], 0 offen lds               // 000000006368: E0511000 8004000E
	s_add_u32 m0, 0x500, s36                                   // 000000006370: 807C24FF 00000500
	v_mfma_f32_16x16x16_bf16 v[136:139], a[22:23], v[70:71], v[136:139]// 000000006378: D3E10088 0E228D16
	v_mfma_f32_16x16x16_bf16 v[136:139], a[24:25], v[72:73], v[136:139]// 000000006380: D3E10088 0E229118
	buffer_load_dwordx4 a[148:151], v27, s[20:23], 0 offen offset:1024// 000000006388: E05C1400 8085941B
	v_mfma_f32_16x16x16_bf16 v[136:139], a[26:27], v[74:75], v[136:139]// 000000006390: D3E10088 0E22951A
	v_mfma_f32_16x16x16_bf16 v[136:139], a[28:29], v[76:77], v[136:139]// 000000006398: D3E10088 0E22991C
	buffer_load_dword v15, s[16:19], 0 offen lds               // 0000000063A0: E0511000 8004000F
	s_add_u32 m0, 0x600, s36                                   // 0000000063A8: 807C24FF 00000600
	v_mfma_f32_16x16x16_bf16 v[136:139], a[30:31], v[78:79], v[136:139]// 0000000063B0: D3E10088 0E229D1E
	v_mfma_f32_16x16x16_bf16 v[140:143], a[16:17], v[80:81], v[140:143]// 0000000063B8: D3E1008C 0E32A110
	buffer_load_dwordx4 a[152:155], v27, s[20:23], 0 offen offset:2048// 0000000063C0: E05C1800 8085981B
	v_mfma_f32_16x16x16_bf16 v[140:143], a[18:19], v[82:83], v[140:143]// 0000000063C8: D3E1008C 0E32A512
	v_mfma_f32_16x16x16_bf16 v[140:143], a[20:21], v[84:85], v[140:143]// 0000000063D0: D3E1008C 0E32A914
	buffer_load_dword v16, s[16:19], 0 offen lds               // 0000000063D8: E0511000 80040010
	s_add_u32 m0, 0x700, s36                                   // 0000000063E0: 807C24FF 00000700
	v_mfma_f32_16x16x16_bf16 v[140:143], a[22:23], v[86:87], v[140:143]// 0000000063E8: D3E1008C 0E32AD16
	v_mfma_f32_16x16x16_bf16 v[140:143], a[24:25], v[88:89], v[140:143]// 0000000063F0: D3E1008C 0E32B118
	buffer_load_dwordx4 a[156:159], v27, s[20:23], 0 offen offset:3072// 0000000063F8: E05C1C00 80859C1B
	v_mfma_f32_16x16x16_bf16 v[140:143], a[26:27], v[90:91], v[140:143]// 000000006400: D3E1008C 0E32B51A
	v_mfma_f32_16x16x16_bf16 v[140:143], a[28:29], v[92:93], v[140:143]// 000000006408: D3E1008C 0E32B91C
	buffer_load_dword v17, s[16:19], 0 offen lds               // 000000006410: E0511000 80040011
	s_add_u32 m0, 0, s37                                       // 000000006418: 807C2580
	v_mfma_f32_16x16x16_bf16 v[140:143], a[30:31], v[94:95], v[140:143]// 00000000641C: D3E1008C 0E32BD1E
	s_waitcnt vmcnt(32)                                        // 000000006424: BF8C8F70
	v_mfma_f32_16x16x16_bf16 v[144:147], a[32:33], v[64:65], v[144:147]// 000000006428: D3E10090 0E428120
	buffer_load_dwordx4 a[160:163], v28, s[20:23], 0 offen     // 000000006430: E05C1000 8085A01C
	v_mfma_f32_16x16x16_bf16 v[144:147], a[34:35], v[66:67], v[144:147]// 000000006438: D3E10090 0E428522
	v_mfma_f32_16x16x16_bf16 v[144:147], a[36:37], v[68:69], v[144:147]// 000000006440: D3E10090 0E428924
	ds_read_b128 v[96:99], v2 offset:8320                      // 000000006448: D9FE2080 60000002
	v_mfma_f32_16x16x16_bf16 v[144:147], a[38:39], v[70:71], v[144:147]// 000000006450: D3E10090 0E428D26
	v_mfma_f32_16x16x16_bf16 v[144:147], a[40:41], v[72:73], v[144:147]// 000000006458: D3E10090 0E429128
	buffer_load_dwordx4 a[164:167], v28, s[20:23], 0 offen offset:1024// 000000006460: E05C1400 8085A41C
	v_mfma_f32_16x16x16_bf16 v[144:147], a[42:43], v[74:75], v[144:147]// 000000006468: D3E10090 0E42952A
	v_mfma_f32_16x16x16_bf16 v[144:147], a[44:45], v[76:77], v[144:147]// 000000006470: D3E10090 0E42992C
	ds_read_b128 v[100:103], v2 offset:8384                    // 000000006478: D9FE20C0 64000002
	v_mfma_f32_16x16x16_bf16 v[144:147], a[46:47], v[78:79], v[144:147]// 000000006480: D3E10090 0E429D2E
	v_mfma_f32_16x16x16_bf16 v[148:151], a[32:33], v[80:81], v[148:151]// 000000006488: D3E10094 0E52A120
	buffer_load_dwordx4 a[168:171], v28, s[20:23], 0 offen offset:2048// 000000006490: E05C1800 8085A81C
	v_mfma_f32_16x16x16_bf16 v[148:151], a[34:35], v[82:83], v[148:151]// 000000006498: D3E10094 0E52A522
	v_mfma_f32_16x16x16_bf16 v[148:151], a[36:37], v[84:85], v[148:151]// 0000000064A0: D3E10094 0E52A924
	ds_read_b128 v[104:107], v2 offset:8448                    // 0000000064A8: D9FE2100 68000002
	v_mfma_f32_16x16x16_bf16 v[148:151], a[38:39], v[86:87], v[148:151]// 0000000064B0: D3E10094 0E52AD26
	v_mfma_f32_16x16x16_bf16 v[148:151], a[40:41], v[88:89], v[148:151]// 0000000064B8: D3E10094 0E52B128
	buffer_load_dwordx4 a[172:175], v28, s[20:23], 0 offen offset:3072// 0000000064C0: E05C1C00 8085AC1C
	v_mfma_f32_16x16x16_bf16 v[148:151], a[42:43], v[90:91], v[148:151]// 0000000064C8: D3E10094 0E52B52A
	v_mfma_f32_16x16x16_bf16 v[148:151], a[44:45], v[92:93], v[148:151]// 0000000064D0: D3E10094 0E52B92C
	ds_read_b128 v[108:111], v2 offset:8512                    // 0000000064D8: D9FE2140 6C000002
	v_mfma_f32_16x16x16_bf16 v[148:151], a[46:47], v[94:95], v[148:151]// 0000000064E0: D3E10094 0E52BD2E
	v_mfma_f32_16x16x16_bf16 v[152:155], a[48:49], v[64:65], v[152:155]// 0000000064E8: D3E10098 0E628130
	buffer_load_dwordx4 a[176:179], v29, s[20:23], 0 offen     // 0000000064F0: E05C1000 8085B01D
	v_mfma_f32_16x16x16_bf16 v[152:155], a[50:51], v[66:67], v[152:155]// 0000000064F8: D3E10098 0E628532
	v_mfma_f32_16x16x16_bf16 v[152:155], a[52:53], v[68:69], v[152:155]// 000000006500: D3E10098 0E628934
	ds_read_b128 v[112:115], v2 offset:9344                    // 000000006508: D9FE2480 70000002
	v_mfma_f32_16x16x16_bf16 v[152:155], a[54:55], v[70:71], v[152:155]// 000000006510: D3E10098 0E628D36
	v_mfma_f32_16x16x16_bf16 v[152:155], a[56:57], v[72:73], v[152:155]// 000000006518: D3E10098 0E629138
	buffer_load_dwordx4 a[180:183], v29, s[20:23], 0 offen offset:1024// 000000006520: E05C1400 8085B41D
	v_mfma_f32_16x16x16_bf16 v[152:155], a[58:59], v[74:75], v[152:155]// 000000006528: D3E10098 0E62953A
	v_mfma_f32_16x16x16_bf16 v[152:155], a[60:61], v[76:77], v[152:155]// 000000006530: D3E10098 0E62993C
	ds_read_b128 v[116:119], v2 offset:9408                    // 000000006538: D9FE24C0 74000002
	v_mfma_f32_16x16x16_bf16 v[152:155], a[62:63], v[78:79], v[152:155]// 000000006540: D3E10098 0E629D3E
	v_mfma_f32_16x16x16_bf16 v[156:159], a[48:49], v[80:81], v[156:159]// 000000006548: D3E1009C 0E72A130
	buffer_load_dwordx4 a[184:187], v29, s[20:23], 0 offen offset:2048// 000000006550: E05C1800 8085B81D
	v_mfma_f32_16x16x16_bf16 v[156:159], a[50:51], v[82:83], v[156:159]// 000000006558: D3E1009C 0E72A532
	v_mfma_f32_16x16x16_bf16 v[156:159], a[52:53], v[84:85], v[156:159]// 000000006560: D3E1009C 0E72A934
	ds_read_b128 v[120:123], v2 offset:9472                    // 000000006568: D9FE2500 78000002
	v_mfma_f32_16x16x16_bf16 v[156:159], a[54:55], v[86:87], v[156:159]// 000000006570: D3E1009C 0E72AD36
	v_mfma_f32_16x16x16_bf16 v[156:159], a[56:57], v[88:89], v[156:159]// 000000006578: D3E1009C 0E72B138
	buffer_load_dwordx4 a[188:191], v29, s[20:23], 0 offen offset:3072// 000000006580: E05C1C00 8085BC1D
	v_mfma_f32_16x16x16_bf16 v[156:159], a[58:59], v[90:91], v[156:159]// 000000006588: D3E1009C 0E72B53A
	v_mfma_f32_16x16x16_bf16 v[156:159], a[60:61], v[92:93], v[156:159]// 000000006590: D3E1009C 0E72B93C
	ds_read_b128 v[124:127], v2 offset:9536                    // 000000006598: D9FE2540 7C000002
	v_mfma_f32_16x16x16_bf16 v[156:159], a[62:63], v[94:95], v[156:159]// 0000000065A0: D3E1009C 0E72BD3E
	s_waitcnt vmcnt(32)                                        // 0000000065A8: BF8C8F70
	v_mfma_f32_16x16x16_bf16 v[160:163], a[64:65], v[64:65], v[160:163]// 0000000065AC: D3E100A0 0E828140
	buffer_load_dwordx4 a[192:195], v30, s[20:23], 0 offen     // 0000000065B4: E05C1000 8085C01E
	v_mfma_f32_16x16x16_bf16 v[160:163], a[66:67], v[66:67], v[160:163]// 0000000065BC: D3E100A0 0E828542
	v_mfma_f32_16x16x16_bf16 v[160:163], a[68:69], v[68:69], v[160:163]// 0000000065C4: D3E100A0 0E828944
	s_add_u32 s60, 0x180, s80                                  // 0000000065CC: 803C50FF 00000180
	s_cmp_lt_u32 s60, s81                                      // 0000000065D4: BF0A513C
	s_cselect_b32 s57, s57, 0                                  // 0000000065D8: 85398039
	v_mfma_f32_16x16x16_bf16 v[160:163], a[70:71], v[70:71], v[160:163]// 0000000065DC: D3E100A0 0E828D46
	v_mfma_f32_16x16x16_bf16 v[160:163], a[72:73], v[72:73], v[160:163]// 0000000065E4: D3E100A0 0E829148
	buffer_load_dwordx4 a[196:199], v30, s[20:23], 0 offen offset:1024// 0000000065EC: E05C1400 8085C41E
	v_mfma_f32_16x16x16_bf16 v[160:163], a[74:75], v[74:75], v[160:163]// 0000000065F4: D3E100A0 0E82954A
	v_mfma_f32_16x16x16_bf16 v[160:163], a[76:77], v[76:77], v[160:163]// 0000000065FC: D3E100A0 0E82994C
	s_add_u32 s60, 0x100, s80                                  // 000000006604: 803C50FF 00000100
	s_cmp_lt_u32 s60, s81                                      // 00000000660C: BF0A513C
	s_cselect_b32 s58, s58, 0                                  // 000000006610: 853A803A
	v_mfma_f32_16x16x16_bf16 v[160:163], a[78:79], v[78:79], v[160:163]// 000000006614: D3E100A0 0E829D4E
	v_mfma_f32_16x16x16_bf16 v[164:167], a[64:65], v[80:81], v[164:167]// 00000000661C: D3E100A4 0E92A140
	buffer_load_dwordx4 a[200:203], v30, s[20:23], 0 offen offset:2048// 000000006624: E05C1800 8085C81E
	v_mfma_f32_16x16x16_bf16 v[164:167], a[66:67], v[82:83], v[164:167]// 00000000662C: D3E100A4 0E92A542
	v_mfma_f32_16x16x16_bf16 v[164:167], a[68:69], v[84:85], v[164:167]// 000000006634: D3E100A4 0E92A944
	s_add_u32 s16, s57, s16                                    // 00000000663C: 80101039
	s_addc_u32 s17, 0, s17                                     // 000000006640: 82111180
	v_mfma_f32_16x16x16_bf16 v[164:167], a[70:71], v[86:87], v[164:167]// 000000006644: D3E100A4 0E92AD46
	v_mfma_f32_16x16x16_bf16 v[164:167], a[72:73], v[88:89], v[164:167]// 00000000664C: D3E100A4 0E92B148
	buffer_load_dwordx4 a[204:207], v30, s[20:23], 0 offen offset:3072// 000000006654: E05C1C00 8085CC1E
	v_mfma_f32_16x16x16_bf16 v[164:167], a[74:75], v[90:91], v[164:167]// 00000000665C: D3E100A4 0E92B54A
	v_mfma_f32_16x16x16_bf16 v[164:167], a[76:77], v[92:93], v[164:167]// 000000006664: D3E100A4 0E92B94C
	v_mfma_f32_16x16x16_bf16 v[164:167], a[78:79], v[94:95], v[164:167]// 00000000666C: D3E100A4 0E92BD4E
	v_mfma_f32_16x16x16_bf16 v[168:171], a[80:81], v[64:65], v[168:171]// 000000006674: D3E100A8 0EA28150
	buffer_load_dwordx4 a[208:211], v31, s[20:23], 0 offen     // 00000000667C: E05C1000 8085D01F
	v_mfma_f32_16x16x16_bf16 v[168:171], a[82:83], v[66:67], v[168:171]// 000000006684: D3E100A8 0EA28552
	v_mfma_f32_16x16x16_bf16 v[168:171], a[84:85], v[68:69], v[168:171]// 00000000668C: D3E100A8 0EA28954
	v_mfma_f32_16x16x16_bf16 v[168:171], a[86:87], v[70:71], v[168:171]// 000000006694: D3E100A8 0EA28D56
	v_mfma_f32_16x16x16_bf16 v[168:171], a[88:89], v[72:73], v[168:171]// 00000000669C: D3E100A8 0EA29158
	buffer_load_dwordx4 a[212:215], v31, s[20:23], 0 offen offset:1024// 0000000066A4: E05C1400 8085D41F
	v_mfma_f32_16x16x16_bf16 v[168:171], a[90:91], v[74:75], v[168:171]// 0000000066AC: D3E100A8 0EA2955A
	v_mfma_f32_16x16x16_bf16 v[168:171], a[92:93], v[76:77], v[168:171]// 0000000066B4: D3E100A8 0EA2995C
	v_mfma_f32_16x16x16_bf16 v[168:171], a[94:95], v[78:79], v[168:171]// 0000000066BC: D3E100A8 0EA29D5E
	v_mfma_f32_16x16x16_bf16 v[172:175], a[80:81], v[80:81], v[172:175]// 0000000066C4: D3E100AC 0EB2A150
	buffer_load_dwordx4 a[216:219], v31, s[20:23], 0 offen offset:2048// 0000000066CC: E05C1800 8085D81F
	v_mfma_f32_16x16x16_bf16 v[172:175], a[82:83], v[82:83], v[172:175]// 0000000066D4: D3E100AC 0EB2A552
	v_mfma_f32_16x16x16_bf16 v[172:175], a[84:85], v[84:85], v[172:175]// 0000000066DC: D3E100AC 0EB2A954
	v_mfma_f32_16x16x16_bf16 v[172:175], a[86:87], v[86:87], v[172:175]// 0000000066E4: D3E100AC 0EB2AD56
	v_mfma_f32_16x16x16_bf16 v[172:175], a[88:89], v[88:89], v[172:175]// 0000000066EC: D3E100AC 0EB2B158
	buffer_load_dwordx4 a[220:223], v31, s[20:23], 0 offen offset:3072// 0000000066F4: E05C1C00 8085DC1F
	v_mfma_f32_16x16x16_bf16 v[172:175], a[90:91], v[90:91], v[172:175]// 0000000066FC: D3E100AC 0EB2B55A
	v_mfma_f32_16x16x16_bf16 v[172:175], a[92:93], v[92:93], v[172:175]// 000000006704: D3E100AC 0EB2B95C
	v_mfma_f32_16x16x16_bf16 v[172:175], a[94:95], v[94:95], v[172:175]// 00000000670C: D3E100AC 0EB2BD5E
	s_waitcnt vmcnt(32)                                        // 000000006714: BF8C8F70
	v_mfma_f32_16x16x16_bf16 v[176:179], a[96:97], v[64:65], v[176:179]// 000000006718: D3E100B0 0EC28160
	buffer_load_dwordx4 a[224:227], v32, s[20:23], 0 offen     // 000000006720: E05C1000 8085E020
	v_mfma_f32_16x16x16_bf16 v[176:179], a[98:99], v[66:67], v[176:179]// 000000006728: D3E100B0 0EC28562
	v_mfma_f32_16x16x16_bf16 v[176:179], a[100:101], v[68:69], v[176:179]// 000000006730: D3E100B0 0EC28964
	v_mfma_f32_16x16x16_bf16 v[176:179], a[102:103], v[70:71], v[176:179]// 000000006738: D3E100B0 0EC28D66
	v_mfma_f32_16x16x16_bf16 v[176:179], a[104:105], v[72:73], v[176:179]// 000000006740: D3E100B0 0EC29168
	buffer_load_dwordx4 a[228:231], v32, s[20:23], 0 offen offset:1024// 000000006748: E05C1400 8085E420
	v_mfma_f32_16x16x16_bf16 v[176:179], a[106:107], v[74:75], v[176:179]// 000000006750: D3E100B0 0EC2956A
	v_mfma_f32_16x16x16_bf16 v[176:179], a[108:109], v[76:77], v[176:179]// 000000006758: D3E100B0 0EC2996C
	v_mfma_f32_16x16x16_bf16 v[176:179], a[110:111], v[78:79], v[176:179]// 000000006760: D3E100B0 0EC29D6E
	v_mfma_f32_16x16x16_bf16 v[180:183], a[96:97], v[80:81], v[180:183]// 000000006768: D3E100B4 0ED2A160
	buffer_load_dwordx4 a[232:235], v32, s[20:23], 0 offen offset:2048// 000000006770: E05C1800 8085E820
	v_mfma_f32_16x16x16_bf16 v[180:183], a[98:99], v[82:83], v[180:183]// 000000006778: D3E100B4 0ED2A562
	v_mfma_f32_16x16x16_bf16 v[180:183], a[100:101], v[84:85], v[180:183]// 000000006780: D3E100B4 0ED2A964
	v_mfma_f32_16x16x16_bf16 v[180:183], a[102:103], v[86:87], v[180:183]// 000000006788: D3E100B4 0ED2AD66
	v_mfma_f32_16x16x16_bf16 v[180:183], a[104:105], v[88:89], v[180:183]// 000000006790: D3E100B4 0ED2B168
	buffer_load_dwordx4 a[236:239], v32, s[20:23], 0 offen offset:3072// 000000006798: E05C1C00 8085EC20
	v_mfma_f32_16x16x16_bf16 v[180:183], a[106:107], v[90:91], v[180:183]// 0000000067A0: D3E100B4 0ED2B56A
	v_mfma_f32_16x16x16_bf16 v[180:183], a[108:109], v[92:93], v[180:183]// 0000000067A8: D3E100B4 0ED2B96C
	v_mfma_f32_16x16x16_bf16 v[180:183], a[110:111], v[94:95], v[180:183]// 0000000067B0: D3E100B4 0ED2BD6E
	v_mfma_f32_16x16x16_bf16 v[184:187], a[112:113], v[64:65], v[184:187]// 0000000067B8: D3E100B8 0EE28170
	buffer_load_dwordx4 a[240:243], v33, s[20:23], 0 offen     // 0000000067C0: E05C1000 8085F021
	v_mfma_f32_16x16x16_bf16 v[184:187], a[114:115], v[66:67], v[184:187]// 0000000067C8: D3E100B8 0EE28572
	v_mfma_f32_16x16x16_bf16 v[184:187], a[116:117], v[68:69], v[184:187]// 0000000067D0: D3E100B8 0EE28974
	v_mfma_f32_16x16x16_bf16 v[184:187], a[118:119], v[70:71], v[184:187]// 0000000067D8: D3E100B8 0EE28D76
	v_mfma_f32_16x16x16_bf16 v[184:187], a[120:121], v[72:73], v[184:187]// 0000000067E0: D3E100B8 0EE29178
	buffer_load_dwordx4 a[244:247], v33, s[20:23], 0 offen offset:1024// 0000000067E8: E05C1400 8085F421
	v_mfma_f32_16x16x16_bf16 v[184:187], a[122:123], v[74:75], v[184:187]// 0000000067F0: D3E100B8 0EE2957A
	v_mfma_f32_16x16x16_bf16 v[184:187], a[124:125], v[76:77], v[184:187]// 0000000067F8: D3E100B8 0EE2997C
	v_mfma_f32_16x16x16_bf16 v[184:187], a[126:127], v[78:79], v[184:187]// 000000006800: D3E100B8 0EE29D7E
	v_mfma_f32_16x16x16_bf16 v[188:191], a[112:113], v[80:81], v[188:191]// 000000006808: D3E100BC 0EF2A170
	buffer_load_dwordx4 a[248:251], v33, s[20:23], 0 offen offset:2048// 000000006810: E05C1800 8085F821
	v_mfma_f32_16x16x16_bf16 v[188:191], a[114:115], v[82:83], v[188:191]// 000000006818: D3E100BC 0EF2A572
	v_mfma_f32_16x16x16_bf16 v[188:191], a[116:117], v[84:85], v[188:191]// 000000006820: D3E100BC 0EF2A974
	v_mfma_f32_16x16x16_bf16 v[188:191], a[118:119], v[86:87], v[188:191]// 000000006828: D3E100BC 0EF2AD76
	v_mfma_f32_16x16x16_bf16 v[188:191], a[120:121], v[88:89], v[188:191]// 000000006830: D3E100BC 0EF2B178
	buffer_load_dwordx4 a[252:255], v33, s[20:23], 0 offen offset:3072// 000000006838: E05C1C00 8085FC21
	v_mfma_f32_16x16x16_bf16 v[188:191], a[122:123], v[90:91], v[188:191]// 000000006840: D3E100BC 0EF2B57A
	v_mfma_f32_16x16x16_bf16 v[188:191], a[124:125], v[92:93], v[188:191]// 000000006848: D3E100BC 0EF2B97C
	s_add_u32 s20, s58, s20                                    // 000000006850: 8014143A
	s_addc_u32 s21, 0, s21                                     // 000000006854: 82151580
	v_mfma_f32_16x16x16_bf16 v[188:191], a[126:127], v[94:95], v[188:191]// 000000006858: D3E100BC 0EF2BD7E
	s_addk_i32 s80, 0x80                                       // 000000006860: B7500080
	s_cmp_lt_i32 s80, s81                                      // 000000006864: BF045150
	s_cbranch_scc0 label_101F                                  // 000000006868: BF840184
	s_waitcnt vmcnt(24) lgkmcnt(0)                             // 00000000686C: BF8C4078
	s_barrier                                                  // 000000006870: BF8A0000
	v_mfma_f32_16x16x16_bf16 v[128:131], a[128:129], v[96:97], v[128:131]// 000000006874: D3E10080 0E02C180
	buffer_load_dwordx4 a[0:3], v26, s[20:23], 0 offen         // 00000000687C: E05C1000 8085001A
	v_mfma_f32_16x16x16_bf16 v[128:131], a[130:131], v[98:99], v[128:131]// 000000006884: D3E10080 0E02C582
	v_mfma_f32_16x16x16_bf16 v[128:131], a[132:133], v[100:101], v[128:131]// 00000000688C: D3E10080 0E02C984
	buffer_load_dword v10, s[16:19], 0 offen lds               // 000000006894: E0511000 8004000A
	s_add_u32 m0, 0x100, s37                                   // 00000000689C: 807C25FF 00000100
	v_mfma_f32_16x16x16_bf16 v[128:131], a[134:135], v[102:103], v[128:131]// 0000000068A4: D3E10080 0E02CD86
	v_mfma_f32_16x16x16_bf16 v[128:131], a[136:137], v[104:105], v[128:131]// 0000000068AC: D3E10080 0E02D188
	buffer_load_dwordx4 a[4:7], v26, s[20:23], 0 offen offset:1024// 0000000068B4: E05C1400 8085041A
	v_mfma_f32_16x16x16_bf16 v[128:131], a[138:139], v[106:107], v[128:131]// 0000000068BC: D3E10080 0E02D58A
	v_mfma_f32_16x16x16_bf16 v[128:131], a[140:141], v[108:109], v[128:131]// 0000000068C4: D3E10080 0E02D98C
	buffer_load_dword v11, s[16:19], 0 offen lds               // 0000000068CC: E0511000 8004000B
	s_add_u32 m0, 0x200, s37                                   // 0000000068D4: 807C25FF 00000200
	v_mfma_f32_16x16x16_bf16 v[128:131], a[142:143], v[110:111], v[128:131]// 0000000068DC: D3E10080 0E02DD8E
	v_mfma_f32_16x16x16_bf16 v[132:135], a[128:129], v[112:113], v[132:135]// 0000000068E4: D3E10084 0E12E180
	buffer_load_dwordx4 a[8:11], v26, s[20:23], 0 offen offset:2048// 0000000068EC: E05C1800 8085081A
	v_mfma_f32_16x16x16_bf16 v[132:135], a[130:131], v[114:115], v[132:135]// 0000000068F4: D3E10084 0E12E582
	v_mfma_f32_16x16x16_bf16 v[132:135], a[132:133], v[116:117], v[132:135]// 0000000068FC: D3E10084 0E12E984
	buffer_load_dword v12, s[16:19], 0 offen lds               // 000000006904: E0511000 8004000C
	s_add_u32 m0, 0x300, s37                                   // 00000000690C: 807C25FF 00000300
	v_mfma_f32_16x16x16_bf16 v[132:135], a[134:135], v[118:119], v[132:135]// 000000006914: D3E10084 0E12ED86
	v_mfma_f32_16x16x16_bf16 v[132:135], a[136:137], v[120:121], v[132:135]// 00000000691C: D3E10084 0E12F188
	buffer_load_dwordx4 a[12:15], v26, s[20:23], 0 offen offset:3072// 000000006924: E05C1C00 80850C1A
	v_mfma_f32_16x16x16_bf16 v[132:135], a[138:139], v[122:123], v[132:135]// 00000000692C: D3E10084 0E12F58A
	v_mfma_f32_16x16x16_bf16 v[132:135], a[140:141], v[124:125], v[132:135]// 000000006934: D3E10084 0E12F98C
	buffer_load_dword v13, s[16:19], 0 offen lds               // 00000000693C: E0511000 8004000D
	s_add_u32 m0, 0x400, s37                                   // 000000006944: 807C25FF 00000400
	v_mfma_f32_16x16x16_bf16 v[132:135], a[142:143], v[126:127], v[132:135]// 00000000694C: D3E10084 0E12FD8E
	v_mfma_f32_16x16x16_bf16 v[136:139], a[144:145], v[96:97], v[136:139]// 000000006954: D3E10088 0E22C190
	buffer_load_dwordx4 a[16:19], v27, s[20:23], 0 offen       // 00000000695C: E05C1000 8085101B
	v_mfma_f32_16x16x16_bf16 v[136:139], a[146:147], v[98:99], v[136:139]// 000000006964: D3E10088 0E22C592
	v_mfma_f32_16x16x16_bf16 v[136:139], a[148:149], v[100:101], v[136:139]// 00000000696C: D3E10088 0E22C994
	buffer_load_dword v14, s[16:19], 0 offen lds               // 000000006974: E0511000 8004000E
	s_add_u32 m0, 0x500, s37                                   // 00000000697C: 807C25FF 00000500
	v_mfma_f32_16x16x16_bf16 v[136:139], a[150:151], v[102:103], v[136:139]// 000000006984: D3E10088 0E22CD96
	v_mfma_f32_16x16x16_bf16 v[136:139], a[152:153], v[104:105], v[136:139]// 00000000698C: D3E10088 0E22D198
	buffer_load_dwordx4 a[20:23], v27, s[20:23], 0 offen offset:1024// 000000006994: E05C1400 8085141B
	v_mfma_f32_16x16x16_bf16 v[136:139], a[154:155], v[106:107], v[136:139]// 00000000699C: D3E10088 0E22D59A
	v_mfma_f32_16x16x16_bf16 v[136:139], a[156:157], v[108:109], v[136:139]// 0000000069A4: D3E10088 0E22D99C
	buffer_load_dword v15, s[16:19], 0 offen lds               // 0000000069AC: E0511000 8004000F
	s_add_u32 m0, 0x600, s37                                   // 0000000069B4: 807C25FF 00000600
	v_mfma_f32_16x16x16_bf16 v[136:139], a[158:159], v[110:111], v[136:139]// 0000000069BC: D3E10088 0E22DD9E
	v_mfma_f32_16x16x16_bf16 v[140:143], a[144:145], v[112:113], v[140:143]// 0000000069C4: D3E1008C 0E32E190
	buffer_load_dwordx4 a[24:27], v27, s[20:23], 0 offen offset:2048// 0000000069CC: E05C1800 8085181B
	v_mfma_f32_16x16x16_bf16 v[140:143], a[146:147], v[114:115], v[140:143]// 0000000069D4: D3E1008C 0E32E592
	v_mfma_f32_16x16x16_bf16 v[140:143], a[148:149], v[116:117], v[140:143]// 0000000069DC: D3E1008C 0E32E994
	buffer_load_dword v16, s[16:19], 0 offen lds               // 0000000069E4: E0511000 80040010
	s_add_u32 m0, 0x700, s37                                   // 0000000069EC: 807C25FF 00000700
	v_mfma_f32_16x16x16_bf16 v[140:143], a[150:151], v[118:119], v[140:143]// 0000000069F4: D3E1008C 0E32ED96
	v_mfma_f32_16x16x16_bf16 v[140:143], a[152:153], v[120:121], v[140:143]// 0000000069FC: D3E1008C 0E32F198
	buffer_load_dwordx4 a[28:31], v27, s[20:23], 0 offen offset:3072// 000000006A04: E05C1C00 80851C1B
	v_mfma_f32_16x16x16_bf16 v[140:143], a[154:155], v[122:123], v[140:143]// 000000006A0C: D3E1008C 0E32F59A
	v_mfma_f32_16x16x16_bf16 v[140:143], a[156:157], v[124:125], v[140:143]// 000000006A14: D3E1008C 0E32F99C
	buffer_load_dword v17, s[16:19], 0 offen lds               // 000000006A1C: E0511000 80040011
	s_add_u32 m0, 0, s36                                       // 000000006A24: 807C2480
	v_mfma_f32_16x16x16_bf16 v[140:143], a[158:159], v[126:127], v[140:143]// 000000006A28: D3E1008C 0E32FD9E
	s_waitcnt vmcnt(32)                                        // 000000006A30: BF8C8F70
	v_mfma_f32_16x16x16_bf16 v[144:147], a[160:161], v[96:97], v[144:147]// 000000006A34: D3E10090 0E42C1A0
	buffer_load_dwordx4 a[32:35], v28, s[20:23], 0 offen       // 000000006A3C: E05C1000 8085201C
	v_mfma_f32_16x16x16_bf16 v[144:147], a[162:163], v[98:99], v[144:147]// 000000006A44: D3E10090 0E42C5A2
	v_mfma_f32_16x16x16_bf16 v[144:147], a[164:165], v[100:101], v[144:147]// 000000006A4C: D3E10090 0E42C9A4
	ds_read_b128 v[64:67], v2                                  // 000000006A54: D9FE0000 40000002
	v_mfma_f32_16x16x16_bf16 v[144:147], a[166:167], v[102:103], v[144:147]// 000000006A5C: D3E10090 0E42CDA6
	v_mfma_f32_16x16x16_bf16 v[144:147], a[168:169], v[104:105], v[144:147]// 000000006A64: D3E10090 0E42D1A8
	buffer_load_dwordx4 a[36:39], v28, s[20:23], 0 offen offset:1024// 000000006A6C: E05C1400 8085241C
	v_mfma_f32_16x16x16_bf16 v[144:147], a[170:171], v[106:107], v[144:147]// 000000006A74: D3E10090 0E42D5AA
	v_mfma_f32_16x16x16_bf16 v[144:147], a[172:173], v[108:109], v[144:147]// 000000006A7C: D3E10090 0E42D9AC
	ds_read_b128 v[68:71], v2 offset:64                        // 000000006A84: D9FE0040 44000002
	v_mfma_f32_16x16x16_bf16 v[144:147], a[174:175], v[110:111], v[144:147]// 000000006A8C: D3E10090 0E42DDAE
	v_mfma_f32_16x16x16_bf16 v[148:151], a[160:161], v[112:113], v[148:151]// 000000006A94: D3E10094 0E52E1A0
	buffer_load_dwordx4 a[40:43], v28, s[20:23], 0 offen offset:2048// 000000006A9C: E05C1800 8085281C
	v_mfma_f32_16x16x16_bf16 v[148:151], a[162:163], v[114:115], v[148:151]// 000000006AA4: D3E10094 0E52E5A2
	v_mfma_f32_16x16x16_bf16 v[148:151], a[164:165], v[116:117], v[148:151]// 000000006AAC: D3E10094 0E52E9A4
	ds_read_b128 v[72:75], v2 offset:128                       // 000000006AB4: D9FE0080 48000002
	v_mfma_f32_16x16x16_bf16 v[148:151], a[166:167], v[118:119], v[148:151]// 000000006ABC: D3E10094 0E52EDA6
	v_mfma_f32_16x16x16_bf16 v[148:151], a[168:169], v[120:121], v[148:151]// 000000006AC4: D3E10094 0E52F1A8
	buffer_load_dwordx4 a[44:47], v28, s[20:23], 0 offen offset:3072// 000000006ACC: E05C1C00 80852C1C
	v_mfma_f32_16x16x16_bf16 v[148:151], a[170:171], v[122:123], v[148:151]// 000000006AD4: D3E10094 0E52F5AA
	v_mfma_f32_16x16x16_bf16 v[148:151], a[172:173], v[124:125], v[148:151]// 000000006ADC: D3E10094 0E52F9AC
	ds_read_b128 v[76:79], v2 offset:192                       // 000000006AE4: D9FE00C0 4C000002
	v_mfma_f32_16x16x16_bf16 v[148:151], a[174:175], v[126:127], v[148:151]// 000000006AEC: D3E10094 0E52FDAE
	v_mfma_f32_16x16x16_bf16 v[152:155], a[176:177], v[96:97], v[152:155]// 000000006AF4: D3E10098 0E62C1B0
	buffer_load_dwordx4 a[48:51], v29, s[20:23], 0 offen       // 000000006AFC: E05C1000 8085301D
	v_mfma_f32_16x16x16_bf16 v[152:155], a[178:179], v[98:99], v[152:155]// 000000006B04: D3E10098 0E62C5B2
	v_mfma_f32_16x16x16_bf16 v[152:155], a[180:181], v[100:101], v[152:155]// 000000006B0C: D3E10098 0E62C9B4
	ds_read_b128 v[80:83], v2 offset:1024                      // 000000006B14: D9FE0400 50000002
	v_mfma_f32_16x16x16_bf16 v[152:155], a[182:183], v[102:103], v[152:155]// 000000006B1C: D3E10098 0E62CDB6
	v_mfma_f32_16x16x16_bf16 v[152:155], a[184:185], v[104:105], v[152:155]// 000000006B24: D3E10098 0E62D1B8
	buffer_load_dwordx4 a[52:55], v29, s[20:23], 0 offen offset:1024// 000000006B2C: E05C1400 8085341D
	v_mfma_f32_16x16x16_bf16 v[152:155], a[186:187], v[106:107], v[152:155]// 000000006B34: D3E10098 0E62D5BA
	v_mfma_f32_16x16x16_bf16 v[152:155], a[188:189], v[108:109], v[152:155]// 000000006B3C: D3E10098 0E62D9BC
	ds_read_b128 v[84:87], v2 offset:1088                      // 000000006B44: D9FE0440 54000002
	v_mfma_f32_16x16x16_bf16 v[152:155], a[190:191], v[110:111], v[152:155]// 000000006B4C: D3E10098 0E62DDBE
	v_mfma_f32_16x16x16_bf16 v[156:159], a[176:177], v[112:113], v[156:159]// 000000006B54: D3E1009C 0E72E1B0
	buffer_load_dwordx4 a[56:59], v29, s[20:23], 0 offen offset:2048// 000000006B5C: E05C1800 8085381D
	v_mfma_f32_16x16x16_bf16 v[156:159], a[178:179], v[114:115], v[156:159]// 000000006B64: D3E1009C 0E72E5B2
	v_mfma_f32_16x16x16_bf16 v[156:159], a[180:181], v[116:117], v[156:159]// 000000006B6C: D3E1009C 0E72E9B4
	ds_read_b128 v[88:91], v2 offset:1152                      // 000000006B74: D9FE0480 58000002
	v_mfma_f32_16x16x16_bf16 v[156:159], a[182:183], v[118:119], v[156:159]// 000000006B7C: D3E1009C 0E72EDB6
	v_mfma_f32_16x16x16_bf16 v[156:159], a[184:185], v[120:121], v[156:159]// 000000006B84: D3E1009C 0E72F1B8
	buffer_load_dwordx4 a[60:63], v29, s[20:23], 0 offen offset:3072// 000000006B8C: E05C1C00 80853C1D
	v_mfma_f32_16x16x16_bf16 v[156:159], a[186:187], v[122:123], v[156:159]// 000000006B94: D3E1009C 0E72F5BA
	v_mfma_f32_16x16x16_bf16 v[156:159], a[188:189], v[124:125], v[156:159]// 000000006B9C: D3E1009C 0E72F9BC
	ds_read_b128 v[92:95], v2 offset:1216                      // 000000006BA4: D9FE04C0 5C000002
	v_mfma_f32_16x16x16_bf16 v[156:159], a[190:191], v[126:127], v[156:159]// 000000006BAC: D3E1009C 0E72FDBE
	s_waitcnt vmcnt(32)                                        // 000000006BB4: BF8C8F70
	v_mfma_f32_16x16x16_bf16 v[160:163], a[192:193], v[96:97], v[160:163]// 000000006BB8: D3E100A0 0E82C1C0
	buffer_load_dwordx4 a[64:67], v30, s[20:23], 0 offen       // 000000006BC0: E05C1000 8085401E
	v_mfma_f32_16x16x16_bf16 v[160:163], a[194:195], v[98:99], v[160:163]// 000000006BC8: D3E100A0 0E82C5C2
	v_mfma_f32_16x16x16_bf16 v[160:163], a[196:197], v[100:101], v[160:163]// 000000006BD0: D3E100A0 0E82C9C4
	s_add_u32 s60, 0x180, s80                                  // 000000006BD8: 803C50FF 00000180
	s_cmp_lt_u32 s60, s81                                      // 000000006BE0: BF0A513C
	s_cselect_b32 s57, s57, 0                                  // 000000006BE4: 85398039
	v_mfma_f32_16x16x16_bf16 v[160:163], a[198:199], v[102:103], v[160:163]// 000000006BE8: D3E100A0 0E82CDC6
	v_mfma_f32_16x16x16_bf16 v[160:163], a[200:201], v[104:105], v[160:163]// 000000006BF0: D3E100A0 0E82D1C8
	buffer_load_dwordx4 a[68:71], v30, s[20:23], 0 offen offset:1024// 000000006BF8: E05C1400 8085441E
	v_mfma_f32_16x16x16_bf16 v[160:163], a[202:203], v[106:107], v[160:163]// 000000006C00: D3E100A0 0E82D5CA
	v_mfma_f32_16x16x16_bf16 v[160:163], a[204:205], v[108:109], v[160:163]// 000000006C08: D3E100A0 0E82D9CC
	s_add_u32 s60, 0x100, s80                                  // 000000006C10: 803C50FF 00000100
	s_cmp_lt_u32 s60, s81                                      // 000000006C18: BF0A513C
	s_cselect_b32 s58, s58, 0                                  // 000000006C1C: 853A803A
	v_mfma_f32_16x16x16_bf16 v[160:163], a[206:207], v[110:111], v[160:163]// 000000006C20: D3E100A0 0E82DDCE
	v_mfma_f32_16x16x16_bf16 v[164:167], a[192:193], v[112:113], v[164:167]// 000000006C28: D3E100A4 0E92E1C0
	buffer_load_dwordx4 a[72:75], v30, s[20:23], 0 offen offset:2048// 000000006C30: E05C1800 8085481E
	v_mfma_f32_16x16x16_bf16 v[164:167], a[194:195], v[114:115], v[164:167]// 000000006C38: D3E100A4 0E92E5C2
	v_mfma_f32_16x16x16_bf16 v[164:167], a[196:197], v[116:117], v[164:167]// 000000006C40: D3E100A4 0E92E9C4
	s_add_u32 s16, s57, s16                                    // 000000006C48: 80101039
	s_addc_u32 s17, 0, s17                                     // 000000006C4C: 82111180
	v_mfma_f32_16x16x16_bf16 v[164:167], a[198:199], v[118:119], v[164:167]// 000000006C50: D3E100A4 0E92EDC6
	v_mfma_f32_16x16x16_bf16 v[164:167], a[200:201], v[120:121], v[164:167]// 000000006C58: D3E100A4 0E92F1C8
	buffer_load_dwordx4 a[76:79], v30, s[20:23], 0 offen offset:3072// 000000006C60: E05C1C00 80854C1E
	v_mfma_f32_16x16x16_bf16 v[164:167], a[202:203], v[122:123], v[164:167]// 000000006C68: D3E100A4 0E92F5CA
	v_mfma_f32_16x16x16_bf16 v[164:167], a[204:205], v[124:125], v[164:167]// 000000006C70: D3E100A4 0E92F9CC
	v_mfma_f32_16x16x16_bf16 v[164:167], a[206:207], v[126:127], v[164:167]// 000000006C78: D3E100A4 0E92FDCE
	v_mfma_f32_16x16x16_bf16 v[168:171], a[208:209], v[96:97], v[168:171]// 000000006C80: D3E100A8 0EA2C1D0
	buffer_load_dwordx4 a[80:83], v31, s[20:23], 0 offen       // 000000006C88: E05C1000 8085501F
	v_mfma_f32_16x16x16_bf16 v[168:171], a[210:211], v[98:99], v[168:171]// 000000006C90: D3E100A8 0EA2C5D2
	v_mfma_f32_16x16x16_bf16 v[168:171], a[212:213], v[100:101], v[168:171]// 000000006C98: D3E100A8 0EA2C9D4
	v_mfma_f32_16x16x16_bf16 v[168:171], a[214:215], v[102:103], v[168:171]// 000000006CA0: D3E100A8 0EA2CDD6
	v_mfma_f32_16x16x16_bf16 v[168:171], a[216:217], v[104:105], v[168:171]// 000000006CA8: D3E100A8 0EA2D1D8
	buffer_load_dwordx4 a[84:87], v31, s[20:23], 0 offen offset:1024// 000000006CB0: E05C1400 8085541F
	v_mfma_f32_16x16x16_bf16 v[168:171], a[218:219], v[106:107], v[168:171]// 000000006CB8: D3E100A8 0EA2D5DA
	v_mfma_f32_16x16x16_bf16 v[168:171], a[220:221], v[108:109], v[168:171]// 000000006CC0: D3E100A8 0EA2D9DC
	v_mfma_f32_16x16x16_bf16 v[168:171], a[222:223], v[110:111], v[168:171]// 000000006CC8: D3E100A8 0EA2DDDE
	v_mfma_f32_16x16x16_bf16 v[172:175], a[208:209], v[112:113], v[172:175]// 000000006CD0: D3E100AC 0EB2E1D0
	buffer_load_dwordx4 a[88:91], v31, s[20:23], 0 offen offset:2048// 000000006CD8: E05C1800 8085581F
	v_mfma_f32_16x16x16_bf16 v[172:175], a[210:211], v[114:115], v[172:175]// 000000006CE0: D3E100AC 0EB2E5D2
	v_mfma_f32_16x16x16_bf16 v[172:175], a[212:213], v[116:117], v[172:175]// 000000006CE8: D3E100AC 0EB2E9D4
	v_mfma_f32_16x16x16_bf16 v[172:175], a[214:215], v[118:119], v[172:175]// 000000006CF0: D3E100AC 0EB2EDD6
	v_mfma_f32_16x16x16_bf16 v[172:175], a[216:217], v[120:121], v[172:175]// 000000006CF8: D3E100AC 0EB2F1D8
	buffer_load_dwordx4 a[92:95], v31, s[20:23], 0 offen offset:3072// 000000006D00: E05C1C00 80855C1F
	v_mfma_f32_16x16x16_bf16 v[172:175], a[218:219], v[122:123], v[172:175]// 000000006D08: D3E100AC 0EB2F5DA
	v_mfma_f32_16x16x16_bf16 v[172:175], a[220:221], v[124:125], v[172:175]// 000000006D10: D3E100AC 0EB2F9DC
	v_mfma_f32_16x16x16_bf16 v[172:175], a[222:223], v[126:127], v[172:175]// 000000006D18: D3E100AC 0EB2FDDE
	s_waitcnt vmcnt(32)                                        // 000000006D20: BF8C8F70
	v_mfma_f32_16x16x16_bf16 v[176:179], a[224:225], v[96:97], v[176:179]// 000000006D24: D3E100B0 0EC2C1E0
	buffer_load_dwordx4 a[96:99], v32, s[20:23], 0 offen       // 000000006D2C: E05C1000 80856020
	v_mfma_f32_16x16x16_bf16 v[176:179], a[226:227], v[98:99], v[176:179]// 000000006D34: D3E100B0 0EC2C5E2
	v_mfma_f32_16x16x16_bf16 v[176:179], a[228:229], v[100:101], v[176:179]// 000000006D3C: D3E100B0 0EC2C9E4
	v_mfma_f32_16x16x16_bf16 v[176:179], a[230:231], v[102:103], v[176:179]// 000000006D44: D3E100B0 0EC2CDE6
	v_mfma_f32_16x16x16_bf16 v[176:179], a[232:233], v[104:105], v[176:179]// 000000006D4C: D3E100B0 0EC2D1E8
	buffer_load_dwordx4 a[100:103], v32, s[20:23], 0 offen offset:1024// 000000006D54: E05C1400 80856420
	v_mfma_f32_16x16x16_bf16 v[176:179], a[234:235], v[106:107], v[176:179]// 000000006D5C: D3E100B0 0EC2D5EA
	v_mfma_f32_16x16x16_bf16 v[176:179], a[236:237], v[108:109], v[176:179]// 000000006D64: D3E100B0 0EC2D9EC
	v_mfma_f32_16x16x16_bf16 v[176:179], a[238:239], v[110:111], v[176:179]// 000000006D6C: D3E100B0 0EC2DDEE
	v_mfma_f32_16x16x16_bf16 v[180:183], a[224:225], v[112:113], v[180:183]// 000000006D74: D3E100B4 0ED2E1E0
	buffer_load_dwordx4 a[104:107], v32, s[20:23], 0 offen offset:2048// 000000006D7C: E05C1800 80856820
	v_mfma_f32_16x16x16_bf16 v[180:183], a[226:227], v[114:115], v[180:183]// 000000006D84: D3E100B4 0ED2E5E2
	v_mfma_f32_16x16x16_bf16 v[180:183], a[228:229], v[116:117], v[180:183]// 000000006D8C: D3E100B4 0ED2E9E4
	v_mfma_f32_16x16x16_bf16 v[180:183], a[230:231], v[118:119], v[180:183]// 000000006D94: D3E100B4 0ED2EDE6
	v_mfma_f32_16x16x16_bf16 v[180:183], a[232:233], v[120:121], v[180:183]// 000000006D9C: D3E100B4 0ED2F1E8
	buffer_load_dwordx4 a[108:111], v32, s[20:23], 0 offen offset:3072// 000000006DA4: E05C1C00 80856C20
	v_mfma_f32_16x16x16_bf16 v[180:183], a[234:235], v[122:123], v[180:183]// 000000006DAC: D3E100B4 0ED2F5EA
	v_mfma_f32_16x16x16_bf16 v[180:183], a[236:237], v[124:125], v[180:183]// 000000006DB4: D3E100B4 0ED2F9EC
	v_mfma_f32_16x16x16_bf16 v[180:183], a[238:239], v[126:127], v[180:183]// 000000006DBC: D3E100B4 0ED2FDEE
	v_mfma_f32_16x16x16_bf16 v[184:187], a[240:241], v[96:97], v[184:187]// 000000006DC4: D3E100B8 0EE2C1F0
	buffer_load_dwordx4 a[112:115], v33, s[20:23], 0 offen     // 000000006DCC: E05C1000 80857021
	v_mfma_f32_16x16x16_bf16 v[184:187], a[242:243], v[98:99], v[184:187]// 000000006DD4: D3E100B8 0EE2C5F2
	v_mfma_f32_16x16x16_bf16 v[184:187], a[244:245], v[100:101], v[184:187]// 000000006DDC: D3E100B8 0EE2C9F4
	v_mfma_f32_16x16x16_bf16 v[184:187], a[246:247], v[102:103], v[184:187]// 000000006DE4: D3E100B8 0EE2CDF6
	v_mfma_f32_16x16x16_bf16 v[184:187], a[248:249], v[104:105], v[184:187]// 000000006DEC: D3E100B8 0EE2D1F8
	buffer_load_dwordx4 a[116:119], v33, s[20:23], 0 offen offset:1024// 000000006DF4: E05C1400 80857421
	v_mfma_f32_16x16x16_bf16 v[184:187], a[250:251], v[106:107], v[184:187]// 000000006DFC: D3E100B8 0EE2D5FA
	v_mfma_f32_16x16x16_bf16 v[184:187], a[252:253], v[108:109], v[184:187]// 000000006E04: D3E100B8 0EE2D9FC
	v_mfma_f32_16x16x16_bf16 v[184:187], a[254:255], v[110:111], v[184:187]// 000000006E0C: D3E100B8 0EE2DDFE
	v_mfma_f32_16x16x16_bf16 v[188:191], a[240:241], v[112:113], v[188:191]// 000000006E14: D3E100BC 0EF2E1F0
	buffer_load_dwordx4 a[120:123], v33, s[20:23], 0 offen offset:2048// 000000006E1C: E05C1800 80857821
	v_mfma_f32_16x16x16_bf16 v[188:191], a[242:243], v[114:115], v[188:191]// 000000006E24: D3E100BC 0EF2E5F2
	v_mfma_f32_16x16x16_bf16 v[188:191], a[244:245], v[116:117], v[188:191]// 000000006E2C: D3E100BC 0EF2E9F4
	v_mfma_f32_16x16x16_bf16 v[188:191], a[246:247], v[118:119], v[188:191]// 000000006E34: D3E100BC 0EF2EDF6
	v_mfma_f32_16x16x16_bf16 v[188:191], a[248:249], v[120:121], v[188:191]// 000000006E3C: D3E100BC 0EF2F1F8
	buffer_load_dwordx4 a[124:127], v33, s[20:23], 0 offen offset:3072// 000000006E44: E05C1C00 80857C21
	v_mfma_f32_16x16x16_bf16 v[188:191], a[250:251], v[122:123], v[188:191]// 000000006E4C: D3E100BC 0EF2F5FA
	v_mfma_f32_16x16x16_bf16 v[188:191], a[252:253], v[124:125], v[188:191]// 000000006E54: D3E100BC 0EF2F9FC
	s_add_u32 s20, s58, s20                                    // 000000006E5C: 8014143A
	s_addc_u32 s21, 0, s21                                     // 000000006E60: 82151580
	v_mfma_f32_16x16x16_bf16 v[188:191], a[254:255], v[126:127], v[188:191]// 000000006E64: D3E100BC 0EF2FDFE
	s_addk_i32 s80, 0x80                                       // 000000006E6C: B7500080
	s_cmp_lt_i32 s80, s81                                      // 000000006E70: BF045150
	s_cbranch_scc0 label_101F                                  // 000000006E74: BF840001
	s_branch label_0D18                                        // 000000006E78: BF82FCF9

0000000000006e7c <label_101F>:
	s_mov_b32 s38, -1                                          // 000000006E7C: BEA600C1
	s_mov_b32 s39, -1                                          // 000000006E80: BEA700C1
	s_mov_b64 s[60:61], 0                                      // 000000006E84: BEBC0180
	s_cmp_lt_u32 s82, s66                                      // 000000006E88: BF0A4252
	s_cselect_b64 s[16:17], s[38:39], s[60:61]                 // 000000006E8C: 85903C26
	s_cmp_lt_u32 s83, s66                                      // 000000006E90: BF0A4253
	s_cselect_b64 s[18:19], s[38:39], s[60:61]                 // 000000006E94: 85923C26
	s_cmp_lt_u32 s84, s66                                      // 000000006E98: BF0A4254
	s_cselect_b64 s[20:21], s[38:39], s[60:61]                 // 000000006E9C: 85943C26
	s_cmp_lt_u32 s85, s66                                      // 000000006EA0: BF0A4255
	s_cselect_b64 s[22:23], s[38:39], s[60:61]                 // 000000006EA4: 85963C26
	s_cmp_lt_u32 s86, s66                                      // 000000006EA8: BF0A4256
	s_cselect_b64 s[24:25], s[38:39], s[60:61]                 // 000000006EAC: 85983C26
	s_cmp_lt_u32 s87, s66                                      // 000000006EB0: BF0A4257
	s_cselect_b64 s[26:27], s[38:39], s[60:61]                 // 000000006EB4: 859A3C26
	s_cmp_lt_u32 s88, s66                                      // 000000006EB8: BF0A4258
	s_cselect_b64 s[28:29], s[38:39], s[60:61]                 // 000000006EBC: 859C3C26
	s_cmp_lt_u32 s89, s66                                      // 000000006EC0: BF0A4259
	s_cselect_b64 s[30:31], s[38:39], s[60:61]                 // 000000006EC4: 859E3C26
	s_waitcnt vmcnt(24)                                        // 000000006EC8: BF8C4F78
	buffer_load_dwordx4 a[0:3], v18, s[12:15], 0 offen         // 000000006ECC: E05C1000 80830012
	v_mul_f32_e64 v54, -v128, s6                               // 000000006ED4: D1050036 20000D80
	v_mul_f32_e64 v55, -v129, s6                               // 000000006EDC: D1050037 20000D81
	v_mul_f32_e64 v56, -v130, s6                               // 000000006EE4: D1050038 20000D82
	v_mul_f32_e64 v57, -v131, s6                               // 000000006EEC: D1050039 20000D83
	v_exp_f32_e32 v54, v54                                     // 000000006EF4: 7E6C4136
	v_exp_f32_e32 v55, v55                                     // 000000006EF8: 7E6E4137
	v_exp_f32_e32 v56, v56                                     // 000000006EFC: 7E704138
	v_exp_f32_e32 v57, v57                                     // 000000006F00: 7E724139
	buffer_load_dwordx4 a[4:7], v18, s[12:15], 0 offen offset:1024// 000000006F04: E05C1400 80830412
	v_add_f32_e64 v54, v54, 1.0                                // 000000006F0C: D1010036 0001E536
	v_add_f32_e64 v55, v55, 1.0                                // 000000006F14: D1010037 0001E537
	v_add_f32_e64 v56, v56, 1.0                                // 000000006F1C: D1010038 0001E538
	v_add_f32_e64 v57, v57, 1.0                                // 000000006F24: D1010039 0001E539
	v_rcp_f32_e32 v54, v54                                     // 000000006F2C: 7E6C4536
	v_rcp_f32_e32 v55, v55                                     // 000000006F30: 7E6E4537
	v_rcp_f32_e32 v56, v56                                     // 000000006F34: 7E704538
	v_rcp_f32_e32 v57, v57                                     // 000000006F38: 7E724539
	v_mul_f32_e32 v128, v128, v54                              // 000000006F3C: 0B006D80
	v_mul_f32_e32 v129, v129, v55                              // 000000006F40: 0B026F81
	v_mul_f32_e32 v130, v130, v56                              // 000000006F44: 0B047182
	v_mul_f32_e32 v131, v131, v57                              // 000000006F48: 0B067383
	buffer_load_dwordx4 a[8:11], v18, s[12:15], 0 offen offset:2048// 000000006F4C: E05C1800 80830812
	v_mul_f32_e64 v54, -v132, s6                               // 000000006F54: D1050036 20000D84
	v_mul_f32_e64 v55, -v133, s6                               // 000000006F5C: D1050037 20000D85
	v_mul_f32_e64 v56, -v134, s6                               // 000000006F64: D1050038 20000D86
	v_mul_f32_e64 v57, -v135, s6                               // 000000006F6C: D1050039 20000D87
	v_exp_f32_e32 v54, v54                                     // 000000006F74: 7E6C4136
	v_exp_f32_e32 v55, v55                                     // 000000006F78: 7E6E4137
	v_exp_f32_e32 v56, v56                                     // 000000006F7C: 7E704138
	v_exp_f32_e32 v57, v57                                     // 000000006F80: 7E724139
	buffer_load_dwordx4 a[12:15], v18, s[12:15], 0 offen offset:3072// 000000006F84: E05C1C00 80830C12
	v_add_f32_e64 v54, v54, 1.0                                // 000000006F8C: D1010036 0001E536
	v_add_f32_e64 v55, v55, 1.0                                // 000000006F94: D1010037 0001E537
	v_add_f32_e64 v56, v56, 1.0                                // 000000006F9C: D1010038 0001E538
	v_add_f32_e64 v57, v57, 1.0                                // 000000006FA4: D1010039 0001E539
	v_rcp_f32_e32 v54, v54                                     // 000000006FAC: 7E6C4536
	v_rcp_f32_e32 v55, v55                                     // 000000006FB0: 7E6E4537
	v_rcp_f32_e32 v56, v56                                     // 000000006FB4: 7E704538
	v_rcp_f32_e32 v57, v57                                     // 000000006FB8: 7E724539
	v_mul_f32_e32 v132, v132, v54                              // 000000006FBC: 0B086D84
	v_mul_f32_e32 v133, v133, v55                              // 000000006FC0: 0B0A6F85
	v_mul_f32_e32 v134, v134, v56                              // 000000006FC4: 0B0C7186
	v_mul_f32_e32 v135, v135, v57                              // 000000006FC8: 0B0E7387
	buffer_load_dwordx4 a[16:19], v19, s[12:15], 0 offen       // 000000006FCC: E05C1000 80831013
	v_mul_f32_e64 v54, -v136, s6                               // 000000006FD4: D1050036 20000D88
	v_mul_f32_e64 v55, -v137, s6                               // 000000006FDC: D1050037 20000D89
	v_mul_f32_e64 v56, -v138, s6                               // 000000006FE4: D1050038 20000D8A
	v_mul_f32_e64 v57, -v139, s6                               // 000000006FEC: D1050039 20000D8B
	v_exp_f32_e32 v54, v54                                     // 000000006FF4: 7E6C4136
	v_exp_f32_e32 v55, v55                                     // 000000006FF8: 7E6E4137
	v_exp_f32_e32 v56, v56                                     // 000000006FFC: 7E704138
	v_exp_f32_e32 v57, v57                                     // 000000007000: 7E724139
	buffer_load_dwordx4 a[20:23], v19, s[12:15], 0 offen offset:1024// 000000007004: E05C1400 80831413
	v_add_f32_e64 v54, v54, 1.0                                // 00000000700C: D1010036 0001E536
	v_add_f32_e64 v55, v55, 1.0                                // 000000007014: D1010037 0001E537
	v_add_f32_e64 v56, v56, 1.0                                // 00000000701C: D1010038 0001E538
	v_add_f32_e64 v57, v57, 1.0                                // 000000007024: D1010039 0001E539
	v_rcp_f32_e32 v54, v54                                     // 00000000702C: 7E6C4536
	v_rcp_f32_e32 v55, v55                                     // 000000007030: 7E6E4537
	v_rcp_f32_e32 v56, v56                                     // 000000007034: 7E704538
	v_rcp_f32_e32 v57, v57                                     // 000000007038: 7E724539
	v_mul_f32_e32 v136, v136, v54                              // 00000000703C: 0B106D88
	v_mul_f32_e32 v137, v137, v55                              // 000000007040: 0B126F89
	v_mul_f32_e32 v138, v138, v56                              // 000000007044: 0B14718A
	v_mul_f32_e32 v139, v139, v57                              // 000000007048: 0B16738B
	buffer_load_dwordx4 a[24:27], v19, s[12:15], 0 offen offset:2048// 00000000704C: E05C1800 80831813
	v_mul_f32_e64 v54, -v140, s6                               // 000000007054: D1050036 20000D8C
	v_mul_f32_e64 v55, -v141, s6                               // 00000000705C: D1050037 20000D8D
	v_mul_f32_e64 v56, -v142, s6                               // 000000007064: D1050038 20000D8E
	v_mul_f32_e64 v57, -v143, s6                               // 00000000706C: D1050039 20000D8F
	v_exp_f32_e32 v54, v54                                     // 000000007074: 7E6C4136
	v_exp_f32_e32 v55, v55                                     // 000000007078: 7E6E4137
	v_exp_f32_e32 v56, v56                                     // 00000000707C: 7E704138
	v_exp_f32_e32 v57, v57                                     // 000000007080: 7E724139
	buffer_load_dwordx4 a[28:31], v19, s[12:15], 0 offen offset:3072// 000000007084: E05C1C00 80831C13
	v_add_f32_e64 v54, v54, 1.0                                // 00000000708C: D1010036 0001E536
	v_add_f32_e64 v55, v55, 1.0                                // 000000007094: D1010037 0001E537
	v_add_f32_e64 v56, v56, 1.0                                // 00000000709C: D1010038 0001E538
	v_add_f32_e64 v57, v57, 1.0                                // 0000000070A4: D1010039 0001E539
	v_rcp_f32_e32 v54, v54                                     // 0000000070AC: 7E6C4536
	v_rcp_f32_e32 v55, v55                                     // 0000000070B0: 7E6E4537
	v_rcp_f32_e32 v56, v56                                     // 0000000070B4: 7E704538
	v_rcp_f32_e32 v57, v57                                     // 0000000070B8: 7E724539
	v_mul_f32_e32 v140, v140, v54                              // 0000000070BC: 0B186D8C
	v_mul_f32_e32 v141, v141, v55                              // 0000000070C0: 0B1A6F8D
	v_mul_f32_e32 v142, v142, v56                              // 0000000070C4: 0B1C718E
	v_mul_f32_e32 v143, v143, v57                              // 0000000070C8: 0B1E738F
	s_waitcnt vmcnt(24)                                        // 0000000070CC: BF8C4F78
	buffer_load_dwordx4 a[32:35], v20, s[12:15], 0 offen       // 0000000070D0: E05C1000 80832014
	v_mul_f32_e64 v54, -v144, s6                               // 0000000070D8: D1050036 20000D90
	v_mul_f32_e64 v55, -v145, s6                               // 0000000070E0: D1050037 20000D91
	v_mul_f32_e64 v56, -v146, s6                               // 0000000070E8: D1050038 20000D92
	v_mul_f32_e64 v57, -v147, s6                               // 0000000070F0: D1050039 20000D93
	v_exp_f32_e32 v54, v54                                     // 0000000070F8: 7E6C4136
	v_exp_f32_e32 v55, v55                                     // 0000000070FC: 7E6E4137
	v_exp_f32_e32 v56, v56                                     // 000000007100: 7E704138
	v_exp_f32_e32 v57, v57                                     // 000000007104: 7E724139
	buffer_load_dwordx4 a[36:39], v20, s[12:15], 0 offen offset:1024// 000000007108: E05C1400 80832414
	v_add_f32_e64 v54, v54, 1.0                                // 000000007110: D1010036 0001E536
	v_add_f32_e64 v55, v55, 1.0                                // 000000007118: D1010037 0001E537
	v_add_f32_e64 v56, v56, 1.0                                // 000000007120: D1010038 0001E538
	v_add_f32_e64 v57, v57, 1.0                                // 000000007128: D1010039 0001E539
	v_rcp_f32_e32 v54, v54                                     // 000000007130: 7E6C4536
	v_rcp_f32_e32 v55, v55                                     // 000000007134: 7E6E4537
	v_rcp_f32_e32 v56, v56                                     // 000000007138: 7E704538
	v_rcp_f32_e32 v57, v57                                     // 00000000713C: 7E724539
	v_mul_f32_e32 v144, v144, v54                              // 000000007140: 0B206D90
	v_mul_f32_e32 v145, v145, v55                              // 000000007144: 0B226F91
	v_mul_f32_e32 v146, v146, v56                              // 000000007148: 0B247192
	v_mul_f32_e32 v147, v147, v57                              // 00000000714C: 0B267393
	buffer_load_dwordx4 a[40:43], v20, s[12:15], 0 offen offset:2048// 000000007150: E05C1800 80832814
	v_mul_f32_e64 v54, -v148, s6                               // 000000007158: D1050036 20000D94
	v_mul_f32_e64 v55, -v149, s6                               // 000000007160: D1050037 20000D95
	v_mul_f32_e64 v56, -v150, s6                               // 000000007168: D1050038 20000D96
	v_mul_f32_e64 v57, -v151, s6                               // 000000007170: D1050039 20000D97
	v_exp_f32_e32 v54, v54                                     // 000000007178: 7E6C4136
	v_exp_f32_e32 v55, v55                                     // 00000000717C: 7E6E4137
	v_exp_f32_e32 v56, v56                                     // 000000007180: 7E704138
	v_exp_f32_e32 v57, v57                                     // 000000007184: 7E724139
	buffer_load_dwordx4 a[44:47], v20, s[12:15], 0 offen offset:3072// 000000007188: E05C1C00 80832C14
	v_add_f32_e64 v54, v54, 1.0                                // 000000007190: D1010036 0001E536
	v_add_f32_e64 v55, v55, 1.0                                // 000000007198: D1010037 0001E537
	v_add_f32_e64 v56, v56, 1.0                                // 0000000071A0: D1010038 0001E538
	v_add_f32_e64 v57, v57, 1.0                                // 0000000071A8: D1010039 0001E539
	v_rcp_f32_e32 v54, v54                                     // 0000000071B0: 7E6C4536
	v_rcp_f32_e32 v55, v55                                     // 0000000071B4: 7E6E4537
	v_rcp_f32_e32 v56, v56                                     // 0000000071B8: 7E704538
	v_rcp_f32_e32 v57, v57                                     // 0000000071BC: 7E724539
	v_mul_f32_e32 v148, v148, v54                              // 0000000071C0: 0B286D94
	v_mul_f32_e32 v149, v149, v55                              // 0000000071C4: 0B2A6F95
	v_mul_f32_e32 v150, v150, v56                              // 0000000071C8: 0B2C7196
	v_mul_f32_e32 v151, v151, v57                              // 0000000071CC: 0B2E7397
	buffer_load_dwordx4 a[48:51], v21, s[12:15], 0 offen       // 0000000071D0: E05C1000 80833015
	v_mul_f32_e64 v54, -v152, s6                               // 0000000071D8: D1050036 20000D98
	v_mul_f32_e64 v55, -v153, s6                               // 0000000071E0: D1050037 20000D99
	v_mul_f32_e64 v56, -v154, s6                               // 0000000071E8: D1050038 20000D9A
	v_mul_f32_e64 v57, -v155, s6                               // 0000000071F0: D1050039 20000D9B
	v_exp_f32_e32 v54, v54                                     // 0000000071F8: 7E6C4136
	v_exp_f32_e32 v55, v55                                     // 0000000071FC: 7E6E4137
	v_exp_f32_e32 v56, v56                                     // 000000007200: 7E704138
	v_exp_f32_e32 v57, v57                                     // 000000007204: 7E724139
	buffer_load_dwordx4 a[52:55], v21, s[12:15], 0 offen offset:1024// 000000007208: E05C1400 80833415
	v_add_f32_e64 v54, v54, 1.0                                // 000000007210: D1010036 0001E536
	v_add_f32_e64 v55, v55, 1.0                                // 000000007218: D1010037 0001E537
	v_add_f32_e64 v56, v56, 1.0                                // 000000007220: D1010038 0001E538
	v_add_f32_e64 v57, v57, 1.0                                // 000000007228: D1010039 0001E539
	v_rcp_f32_e32 v54, v54                                     // 000000007230: 7E6C4536
	v_rcp_f32_e32 v55, v55                                     // 000000007234: 7E6E4537
	v_rcp_f32_e32 v56, v56                                     // 000000007238: 7E704538
	v_rcp_f32_e32 v57, v57                                     // 00000000723C: 7E724539
	v_mul_f32_e32 v152, v152, v54                              // 000000007240: 0B306D98
	v_mul_f32_e32 v153, v153, v55                              // 000000007244: 0B326F99
	v_mul_f32_e32 v154, v154, v56                              // 000000007248: 0B34719A
	v_mul_f32_e32 v155, v155, v57                              // 00000000724C: 0B36739B
	buffer_load_dwordx4 a[56:59], v21, s[12:15], 0 offen offset:2048// 000000007250: E05C1800 80833815
	v_mul_f32_e64 v54, -v156, s6                               // 000000007258: D1050036 20000D9C
	v_mul_f32_e64 v55, -v157, s6                               // 000000007260: D1050037 20000D9D
	v_mul_f32_e64 v56, -v158, s6                               // 000000007268: D1050038 20000D9E
	v_mul_f32_e64 v57, -v159, s6                               // 000000007270: D1050039 20000D9F
	v_exp_f32_e32 v54, v54                                     // 000000007278: 7E6C4136
	v_exp_f32_e32 v55, v55                                     // 00000000727C: 7E6E4137
	v_exp_f32_e32 v56, v56                                     // 000000007280: 7E704138
	v_exp_f32_e32 v57, v57                                     // 000000007284: 7E724139
	buffer_load_dwordx4 a[60:63], v21, s[12:15], 0 offen offset:3072// 000000007288: E05C1C00 80833C15
	v_add_f32_e64 v54, v54, 1.0                                // 000000007290: D1010036 0001E536
	v_add_f32_e64 v55, v55, 1.0                                // 000000007298: D1010037 0001E537
	v_add_f32_e64 v56, v56, 1.0                                // 0000000072A0: D1010038 0001E538
	v_add_f32_e64 v57, v57, 1.0                                // 0000000072A8: D1010039 0001E539
	v_rcp_f32_e32 v54, v54                                     // 0000000072B0: 7E6C4536
	v_rcp_f32_e32 v55, v55                                     // 0000000072B4: 7E6E4537
	v_rcp_f32_e32 v56, v56                                     // 0000000072B8: 7E704538
	v_rcp_f32_e32 v57, v57                                     // 0000000072BC: 7E724539
	v_mul_f32_e32 v156, v156, v54                              // 0000000072C0: 0B386D9C
	v_mul_f32_e32 v157, v157, v55                              // 0000000072C4: 0B3A6F9D
	v_mul_f32_e32 v158, v158, v56                              // 0000000072C8: 0B3C719E
	v_mul_f32_e32 v159, v159, v57                              // 0000000072CC: 0B3E739F
	s_waitcnt vmcnt(24)                                        // 0000000072D0: BF8C4F78
	buffer_load_dwordx4 a[64:67], v22, s[12:15], 0 offen       // 0000000072D4: E05C1000 80834016
	v_mul_f32_e64 v54, -v160, s6                               // 0000000072DC: D1050036 20000DA0
	v_mul_f32_e64 v55, -v161, s6                               // 0000000072E4: D1050037 20000DA1
	v_mul_f32_e64 v56, -v162, s6                               // 0000000072EC: D1050038 20000DA2
	v_mul_f32_e64 v57, -v163, s6                               // 0000000072F4: D1050039 20000DA3
	v_exp_f32_e32 v54, v54                                     // 0000000072FC: 7E6C4136
	v_exp_f32_e32 v55, v55                                     // 000000007300: 7E6E4137
	v_exp_f32_e32 v56, v56                                     // 000000007304: 7E704138
	v_exp_f32_e32 v57, v57                                     // 000000007308: 7E724139
	buffer_load_dwordx4 a[68:71], v22, s[12:15], 0 offen offset:1024// 00000000730C: E05C1400 80834416
	v_add_f32_e64 v54, v54, 1.0                                // 000000007314: D1010036 0001E536
	v_add_f32_e64 v55, v55, 1.0                                // 00000000731C: D1010037 0001E537
	v_add_f32_e64 v56, v56, 1.0                                // 000000007324: D1010038 0001E538
	v_add_f32_e64 v57, v57, 1.0                                // 00000000732C: D1010039 0001E539
	v_rcp_f32_e32 v54, v54                                     // 000000007334: 7E6C4536
	v_rcp_f32_e32 v55, v55                                     // 000000007338: 7E6E4537
	v_rcp_f32_e32 v56, v56                                     // 00000000733C: 7E704538
	v_rcp_f32_e32 v57, v57                                     // 000000007340: 7E724539
	v_mul_f32_e32 v160, v160, v54                              // 000000007344: 0B406DA0
	v_mul_f32_e32 v161, v161, v55                              // 000000007348: 0B426FA1
	v_mul_f32_e32 v162, v162, v56                              // 00000000734C: 0B4471A2
	v_mul_f32_e32 v163, v163, v57                              // 000000007350: 0B4673A3
	buffer_load_dwordx4 a[72:75], v22, s[12:15], 0 offen offset:2048// 000000007354: E05C1800 80834816
	v_mul_f32_e64 v54, -v164, s6                               // 00000000735C: D1050036 20000DA4
	v_mul_f32_e64 v55, -v165, s6                               // 000000007364: D1050037 20000DA5
	v_mul_f32_e64 v56, -v166, s6                               // 00000000736C: D1050038 20000DA6
	v_mul_f32_e64 v57, -v167, s6                               // 000000007374: D1050039 20000DA7
	v_exp_f32_e32 v54, v54                                     // 00000000737C: 7E6C4136
	v_exp_f32_e32 v55, v55                                     // 000000007380: 7E6E4137
	v_exp_f32_e32 v56, v56                                     // 000000007384: 7E704138
	v_exp_f32_e32 v57, v57                                     // 000000007388: 7E724139
	buffer_load_dwordx4 a[76:79], v22, s[12:15], 0 offen offset:3072// 00000000738C: E05C1C00 80834C16
	v_add_f32_e64 v54, v54, 1.0                                // 000000007394: D1010036 0001E536
	v_add_f32_e64 v55, v55, 1.0                                // 00000000739C: D1010037 0001E537
	v_add_f32_e64 v56, v56, 1.0                                // 0000000073A4: D1010038 0001E538
	v_add_f32_e64 v57, v57, 1.0                                // 0000000073AC: D1010039 0001E539
	v_rcp_f32_e32 v54, v54                                     // 0000000073B4: 7E6C4536
	v_rcp_f32_e32 v55, v55                                     // 0000000073B8: 7E6E4537
	v_rcp_f32_e32 v56, v56                                     // 0000000073BC: 7E704538
	v_rcp_f32_e32 v57, v57                                     // 0000000073C0: 7E724539
	v_mul_f32_e32 v164, v164, v54                              // 0000000073C4: 0B486DA4
	v_mul_f32_e32 v165, v165, v55                              // 0000000073C8: 0B4A6FA5
	v_mul_f32_e32 v166, v166, v56                              // 0000000073CC: 0B4C71A6
	v_mul_f32_e32 v167, v167, v57                              // 0000000073D0: 0B4E73A7
	buffer_load_dwordx4 a[80:83], v23, s[12:15], 0 offen       // 0000000073D4: E05C1000 80835017
	v_mul_f32_e64 v54, -v168, s6                               // 0000000073DC: D1050036 20000DA8
	v_mul_f32_e64 v55, -v169, s6                               // 0000000073E4: D1050037 20000DA9
	v_mul_f32_e64 v56, -v170, s6                               // 0000000073EC: D1050038 20000DAA
	v_mul_f32_e64 v57, -v171, s6                               // 0000000073F4: D1050039 20000DAB
	v_exp_f32_e32 v54, v54                                     // 0000000073FC: 7E6C4136
	v_exp_f32_e32 v55, v55                                     // 000000007400: 7E6E4137
	v_exp_f32_e32 v56, v56                                     // 000000007404: 7E704138
	v_exp_f32_e32 v57, v57                                     // 000000007408: 7E724139
	buffer_load_dwordx4 a[84:87], v23, s[12:15], 0 offen offset:1024// 00000000740C: E05C1400 80835417
	v_add_f32_e64 v54, v54, 1.0                                // 000000007414: D1010036 0001E536
	v_add_f32_e64 v55, v55, 1.0                                // 00000000741C: D1010037 0001E537
	v_add_f32_e64 v56, v56, 1.0                                // 000000007424: D1010038 0001E538
	v_add_f32_e64 v57, v57, 1.0                                // 00000000742C: D1010039 0001E539
	v_rcp_f32_e32 v54, v54                                     // 000000007434: 7E6C4536
	v_rcp_f32_e32 v55, v55                                     // 000000007438: 7E6E4537
	v_rcp_f32_e32 v56, v56                                     // 00000000743C: 7E704538
	v_rcp_f32_e32 v57, v57                                     // 000000007440: 7E724539
	v_mul_f32_e32 v168, v168, v54                              // 000000007444: 0B506DA8
	v_mul_f32_e32 v169, v169, v55                              // 000000007448: 0B526FA9
	v_mul_f32_e32 v170, v170, v56                              // 00000000744C: 0B5471AA
	v_mul_f32_e32 v171, v171, v57                              // 000000007450: 0B5673AB
	buffer_load_dwordx4 a[88:91], v23, s[12:15], 0 offen offset:2048// 000000007454: E05C1800 80835817
	v_mul_f32_e64 v54, -v172, s6                               // 00000000745C: D1050036 20000DAC
	v_mul_f32_e64 v55, -v173, s6                               // 000000007464: D1050037 20000DAD
	v_mul_f32_e64 v56, -v174, s6                               // 00000000746C: D1050038 20000DAE
	v_mul_f32_e64 v57, -v175, s6                               // 000000007474: D1050039 20000DAF
	v_exp_f32_e32 v54, v54                                     // 00000000747C: 7E6C4136
	v_exp_f32_e32 v55, v55                                     // 000000007480: 7E6E4137
	v_exp_f32_e32 v56, v56                                     // 000000007484: 7E704138
	v_exp_f32_e32 v57, v57                                     // 000000007488: 7E724139
	buffer_load_dwordx4 a[92:95], v23, s[12:15], 0 offen offset:3072// 00000000748C: E05C1C00 80835C17
	v_add_f32_e64 v54, v54, 1.0                                // 000000007494: D1010036 0001E536
	v_add_f32_e64 v55, v55, 1.0                                // 00000000749C: D1010037 0001E537
	v_add_f32_e64 v56, v56, 1.0                                // 0000000074A4: D1010038 0001E538
	v_add_f32_e64 v57, v57, 1.0                                // 0000000074AC: D1010039 0001E539
	v_rcp_f32_e32 v54, v54                                     // 0000000074B4: 7E6C4536
	v_rcp_f32_e32 v55, v55                                     // 0000000074B8: 7E6E4537
	v_rcp_f32_e32 v56, v56                                     // 0000000074BC: 7E704538
	v_rcp_f32_e32 v57, v57                                     // 0000000074C0: 7E724539
	v_mul_f32_e32 v172, v172, v54                              // 0000000074C4: 0B586DAC
	v_mul_f32_e32 v173, v173, v55                              // 0000000074C8: 0B5A6FAD
	v_mul_f32_e32 v174, v174, v56                              // 0000000074CC: 0B5C71AE
	v_mul_f32_e32 v175, v175, v57                              // 0000000074D0: 0B5E73AF
	s_waitcnt vmcnt(24)                                        // 0000000074D4: BF8C4F78
	buffer_load_dwordx4 a[96:99], v24, s[12:15], 0 offen       // 0000000074D8: E05C1000 80836018
	v_mul_f32_e64 v54, -v176, s6                               // 0000000074E0: D1050036 20000DB0
	v_mul_f32_e64 v55, -v177, s6                               // 0000000074E8: D1050037 20000DB1
	v_mul_f32_e64 v56, -v178, s6                               // 0000000074F0: D1050038 20000DB2
	v_mul_f32_e64 v57, -v179, s6                               // 0000000074F8: D1050039 20000DB3
	v_exp_f32_e32 v54, v54                                     // 000000007500: 7E6C4136
	v_exp_f32_e32 v55, v55                                     // 000000007504: 7E6E4137
	v_exp_f32_e32 v56, v56                                     // 000000007508: 7E704138
	v_exp_f32_e32 v57, v57                                     // 00000000750C: 7E724139
	buffer_load_dwordx4 a[100:103], v24, s[12:15], 0 offen offset:1024// 000000007510: E05C1400 80836418
	v_add_f32_e64 v54, v54, 1.0                                // 000000007518: D1010036 0001E536
	v_add_f32_e64 v55, v55, 1.0                                // 000000007520: D1010037 0001E537
	v_add_f32_e64 v56, v56, 1.0                                // 000000007528: D1010038 0001E538
	v_add_f32_e64 v57, v57, 1.0                                // 000000007530: D1010039 0001E539
	v_rcp_f32_e32 v54, v54                                     // 000000007538: 7E6C4536
	v_rcp_f32_e32 v55, v55                                     // 00000000753C: 7E6E4537
	v_rcp_f32_e32 v56, v56                                     // 000000007540: 7E704538
	v_rcp_f32_e32 v57, v57                                     // 000000007544: 7E724539
	v_mul_f32_e32 v176, v176, v54                              // 000000007548: 0B606DB0
	v_mul_f32_e32 v177, v177, v55                              // 00000000754C: 0B626FB1
	v_mul_f32_e32 v178, v178, v56                              // 000000007550: 0B6471B2
	v_mul_f32_e32 v179, v179, v57                              // 000000007554: 0B6673B3
	buffer_load_dwordx4 a[104:107], v24, s[12:15], 0 offen offset:2048// 000000007558: E05C1800 80836818
	v_mul_f32_e64 v54, -v180, s6                               // 000000007560: D1050036 20000DB4
	v_mul_f32_e64 v55, -v181, s6                               // 000000007568: D1050037 20000DB5
	v_mul_f32_e64 v56, -v182, s6                               // 000000007570: D1050038 20000DB6
	v_mul_f32_e64 v57, -v183, s6                               // 000000007578: D1050039 20000DB7
	v_exp_f32_e32 v54, v54                                     // 000000007580: 7E6C4136
	v_exp_f32_e32 v55, v55                                     // 000000007584: 7E6E4137
	v_exp_f32_e32 v56, v56                                     // 000000007588: 7E704138
	v_exp_f32_e32 v57, v57                                     // 00000000758C: 7E724139
	buffer_load_dwordx4 a[108:111], v24, s[12:15], 0 offen offset:3072// 000000007590: E05C1C00 80836C18
	v_add_f32_e64 v54, v54, 1.0                                // 000000007598: D1010036 0001E536
	v_add_f32_e64 v55, v55, 1.0                                // 0000000075A0: D1010037 0001E537
	v_add_f32_e64 v56, v56, 1.0                                // 0000000075A8: D1010038 0001E538
	v_add_f32_e64 v57, v57, 1.0                                // 0000000075B0: D1010039 0001E539
	v_rcp_f32_e32 v54, v54                                     // 0000000075B8: 7E6C4536
	v_rcp_f32_e32 v55, v55                                     // 0000000075BC: 7E6E4537
	v_rcp_f32_e32 v56, v56                                     // 0000000075C0: 7E704538
	v_rcp_f32_e32 v57, v57                                     // 0000000075C4: 7E724539
	v_mul_f32_e32 v180, v180, v54                              // 0000000075C8: 0B686DB4
	v_mul_f32_e32 v181, v181, v55                              // 0000000075CC: 0B6A6FB5
	v_mul_f32_e32 v182, v182, v56                              // 0000000075D0: 0B6C71B6
	v_mul_f32_e32 v183, v183, v57                              // 0000000075D4: 0B6E73B7
	buffer_load_dwordx4 a[112:115], v25, s[12:15], 0 offen     // 0000000075D8: E05C1000 80837019
	v_mul_f32_e64 v54, -v184, s6                               // 0000000075E0: D1050036 20000DB8
	v_mul_f32_e64 v55, -v185, s6                               // 0000000075E8: D1050037 20000DB9
	v_mul_f32_e64 v56, -v186, s6                               // 0000000075F0: D1050038 20000DBA
	v_mul_f32_e64 v57, -v187, s6                               // 0000000075F8: D1050039 20000DBB
	v_exp_f32_e32 v54, v54                                     // 000000007600: 7E6C4136
	v_exp_f32_e32 v55, v55                                     // 000000007604: 7E6E4137
	v_exp_f32_e32 v56, v56                                     // 000000007608: 7E704138
	v_exp_f32_e32 v57, v57                                     // 00000000760C: 7E724139
	buffer_load_dwordx4 a[116:119], v25, s[12:15], 0 offen offset:1024// 000000007610: E05C1400 80837419
	v_add_f32_e64 v54, v54, 1.0                                // 000000007618: D1010036 0001E536
	v_add_f32_e64 v55, v55, 1.0                                // 000000007620: D1010037 0001E537
	v_add_f32_e64 v56, v56, 1.0                                // 000000007628: D1010038 0001E538
	v_add_f32_e64 v57, v57, 1.0                                // 000000007630: D1010039 0001E539
	v_rcp_f32_e32 v54, v54                                     // 000000007638: 7E6C4536
	v_rcp_f32_e32 v55, v55                                     // 00000000763C: 7E6E4537
	v_rcp_f32_e32 v56, v56                                     // 000000007640: 7E704538
	v_rcp_f32_e32 v57, v57                                     // 000000007644: 7E724539
	v_mul_f32_e32 v184, v184, v54                              // 000000007648: 0B706DB8
	v_mul_f32_e32 v185, v185, v55                              // 00000000764C: 0B726FB9
	v_mul_f32_e32 v186, v186, v56                              // 000000007650: 0B7471BA
	v_mul_f32_e32 v187, v187, v57                              // 000000007654: 0B7673BB
	buffer_load_dwordx4 a[120:123], v25, s[12:15], 0 offen offset:2048// 000000007658: E05C1800 80837819
	v_mul_f32_e64 v54, -v188, s6                               // 000000007660: D1050036 20000DBC
	v_mul_f32_e64 v55, -v189, s6                               // 000000007668: D1050037 20000DBD
	v_mul_f32_e64 v56, -v190, s6                               // 000000007670: D1050038 20000DBE
	v_mul_f32_e64 v57, -v191, s6                               // 000000007678: D1050039 20000DBF
	v_exp_f32_e32 v54, v54                                     // 000000007680: 7E6C4136
	v_exp_f32_e32 v55, v55                                     // 000000007684: 7E6E4137
	v_exp_f32_e32 v56, v56                                     // 000000007688: 7E704138
	v_exp_f32_e32 v57, v57                                     // 00000000768C: 7E724139
	buffer_load_dwordx4 a[124:127], v25, s[12:15], 0 offen offset:3072// 000000007690: E05C1C00 80837C19
	v_add_f32_e64 v54, v54, 1.0                                // 000000007698: D1010036 0001E536
	v_add_f32_e64 v55, v55, 1.0                                // 0000000076A0: D1010037 0001E537
	v_add_f32_e64 v56, v56, 1.0                                // 0000000076A8: D1010038 0001E538
	v_add_f32_e64 v57, v57, 1.0                                // 0000000076B0: D1010039 0001E539
	v_rcp_f32_e32 v54, v54                                     // 0000000076B8: 7E6C4536
	v_rcp_f32_e32 v55, v55                                     // 0000000076BC: 7E6E4537
	v_rcp_f32_e32 v56, v56                                     // 0000000076C0: 7E704538
	v_rcp_f32_e32 v57, v57                                     // 0000000076C4: 7E724539
	v_mul_f32_e32 v188, v188, v54                              // 0000000076C8: 0B786DBC
	v_mul_f32_e32 v189, v189, v55                              // 0000000076CC: 0B7A6FBD
	v_mul_f32_e32 v190, v190, v56                              // 0000000076D0: 0B7C71BE
	v_mul_f32_e32 v191, v191, v57                              // 0000000076D4: 0B7E73BF
	v_cmp_u_f32_e64 s[34:35], v128, v128                       // 0000000076D8: D0480022 00030180
	v_add3_u32 v50, v128, v53, 1                               // 0000000076E0: D1FF0032 02066B80
	v_cndmask_b32_e64 v54, v50, v52, s[34:35]                  // 0000000076E8: D1000036 008A6932
	v_cmp_u_f32_e64 s[34:35], v129, v129                       // 0000000076F0: D0480022 00030381
	v_add3_u32 v50, v129, v53, 1                               // 0000000076F8: D1FF0032 02066B81
	v_cndmask_b32_e64 v55, v50, v52, s[34:35]                  // 000000007700: D1000037 008A6932
	v_perm_b32 v128, v55, v54, s52                             // 000000007708: D1ED0080 00D26D37
	v_cmp_u_f32_e64 s[34:35], v130, v130                       // 000000007710: D0480022 00030582
	v_add3_u32 v50, v130, v53, 1                               // 000000007718: D1FF0032 02066B82
	v_cndmask_b32_e64 v54, v50, v52, s[34:35]                  // 000000007720: D1000036 008A6932
	v_cmp_u_f32_e64 s[34:35], v131, v131                       // 000000007728: D0480022 00030783
	v_add3_u32 v50, v131, v53, 1                               // 000000007730: D1FF0032 02066B83
	v_cndmask_b32_e64 v55, v50, v52, s[34:35]                  // 000000007738: D1000037 008A6932
	v_perm_b32 v129, v55, v54, s52                             // 000000007740: D1ED0081 00D26D37
	v_cmp_u_f32_e64 s[34:35], v132, v132                       // 000000007748: D0480022 00030984
	v_add3_u32 v50, v132, v53, 1                               // 000000007750: D1FF0032 02066B84
	v_cndmask_b32_e64 v54, v50, v52, s[34:35]                  // 000000007758: D1000036 008A6932
	v_cmp_u_f32_e64 s[34:35], v133, v133                       // 000000007760: D0480022 00030B85
	v_add3_u32 v50, v133, v53, 1                               // 000000007768: D1FF0032 02066B85
	v_cndmask_b32_e64 v55, v50, v52, s[34:35]                  // 000000007770: D1000037 008A6932
	v_perm_b32 v130, v55, v54, s52                             // 000000007778: D1ED0082 00D26D37
	v_cmp_u_f32_e64 s[34:35], v134, v134                       // 000000007780: D0480022 00030D86
	v_add3_u32 v50, v134, v53, 1                               // 000000007788: D1FF0032 02066B86
	v_cndmask_b32_e64 v54, v50, v52, s[34:35]                  // 000000007790: D1000036 008A6932
	v_cmp_u_f32_e64 s[34:35], v135, v135                       // 000000007798: D0480022 00030F87
	v_add3_u32 v50, v135, v53, 1                               // 0000000077A0: D1FF0032 02066B87
	v_cndmask_b32_e64 v55, v50, v52, s[34:35]                  // 0000000077A8: D1000037 008A6932
	v_perm_b32 v131, v55, v54, s52                             // 0000000077B0: D1ED0083 00D26D37
	v_cmp_u_f32_e64 s[34:35], v136, v136                       // 0000000077B8: D0480022 00031188
	v_add3_u32 v50, v136, v53, 1                               // 0000000077C0: D1FF0032 02066B88
	v_cndmask_b32_e64 v54, v50, v52, s[34:35]                  // 0000000077C8: D1000036 008A6932
	v_cmp_u_f32_e64 s[34:35], v137, v137                       // 0000000077D0: D0480022 00031389
	v_add3_u32 v50, v137, v53, 1                               // 0000000077D8: D1FF0032 02066B89
	v_cndmask_b32_e64 v55, v50, v52, s[34:35]                  // 0000000077E0: D1000037 008A6932
	v_perm_b32 v132, v55, v54, s52                             // 0000000077E8: D1ED0084 00D26D37
	v_cmp_u_f32_e64 s[34:35], v138, v138                       // 0000000077F0: D0480022 0003158A
	v_add3_u32 v50, v138, v53, 1                               // 0000000077F8: D1FF0032 02066B8A
	v_cndmask_b32_e64 v54, v50, v52, s[34:35]                  // 000000007800: D1000036 008A6932
	v_cmp_u_f32_e64 s[34:35], v139, v139                       // 000000007808: D0480022 0003178B
	v_add3_u32 v50, v139, v53, 1                               // 000000007810: D1FF0032 02066B8B
	v_cndmask_b32_e64 v55, v50, v52, s[34:35]                  // 000000007818: D1000037 008A6932
	v_perm_b32 v133, v55, v54, s52                             // 000000007820: D1ED0085 00D26D37
	v_cmp_u_f32_e64 s[34:35], v140, v140                       // 000000007828: D0480022 0003198C
	v_add3_u32 v50, v140, v53, 1                               // 000000007830: D1FF0032 02066B8C
	v_cndmask_b32_e64 v54, v50, v52, s[34:35]                  // 000000007838: D1000036 008A6932
	v_cmp_u_f32_e64 s[34:35], v141, v141                       // 000000007840: D0480022 00031B8D
	v_add3_u32 v50, v141, v53, 1                               // 000000007848: D1FF0032 02066B8D
	v_cndmask_b32_e64 v55, v50, v52, s[34:35]                  // 000000007850: D1000037 008A6932
	v_perm_b32 v134, v55, v54, s52                             // 000000007858: D1ED0086 00D26D37
	v_cmp_u_f32_e64 s[34:35], v142, v142                       // 000000007860: D0480022 00031D8E
	v_add3_u32 v50, v142, v53, 1                               // 000000007868: D1FF0032 02066B8E
	v_cndmask_b32_e64 v54, v50, v52, s[34:35]                  // 000000007870: D1000036 008A6932
	v_cmp_u_f32_e64 s[34:35], v143, v143                       // 000000007878: D0480022 00031F8F
	v_add3_u32 v50, v143, v53, 1                               // 000000007880: D1FF0032 02066B8F
	v_cndmask_b32_e64 v55, v50, v52, s[34:35]                  // 000000007888: D1000037 008A6932
	v_perm_b32 v135, v55, v54, s52                             // 000000007890: D1ED0087 00D26D37
	v_cmp_u_f32_e64 s[34:35], v144, v144                       // 000000007898: D0480022 00032190
	v_add3_u32 v50, v144, v53, 1                               // 0000000078A0: D1FF0032 02066B90
	v_cndmask_b32_e64 v54, v50, v52, s[34:35]                  // 0000000078A8: D1000036 008A6932
	v_cmp_u_f32_e64 s[34:35], v145, v145                       // 0000000078B0: D0480022 00032391
	v_add3_u32 v50, v145, v53, 1                               // 0000000078B8: D1FF0032 02066B91
	v_cndmask_b32_e64 v55, v50, v52, s[34:35]                  // 0000000078C0: D1000037 008A6932
	v_perm_b32 v136, v55, v54, s52                             // 0000000078C8: D1ED0088 00D26D37
	v_cmp_u_f32_e64 s[34:35], v146, v146                       // 0000000078D0: D0480022 00032592
	v_add3_u32 v50, v146, v53, 1                               // 0000000078D8: D1FF0032 02066B92
	v_cndmask_b32_e64 v54, v50, v52, s[34:35]                  // 0000000078E0: D1000036 008A6932
	v_cmp_u_f32_e64 s[34:35], v147, v147                       // 0000000078E8: D0480022 00032793
	v_add3_u32 v50, v147, v53, 1                               // 0000000078F0: D1FF0032 02066B93
	v_cndmask_b32_e64 v55, v50, v52, s[34:35]                  // 0000000078F8: D1000037 008A6932
	v_perm_b32 v137, v55, v54, s52                             // 000000007900: D1ED0089 00D26D37
	v_cmp_u_f32_e64 s[34:35], v148, v148                       // 000000007908: D0480022 00032994
	v_add3_u32 v50, v148, v53, 1                               // 000000007910: D1FF0032 02066B94
	v_cndmask_b32_e64 v54, v50, v52, s[34:35]                  // 000000007918: D1000036 008A6932
	v_cmp_u_f32_e64 s[34:35], v149, v149                       // 000000007920: D0480022 00032B95
	v_add3_u32 v50, v149, v53, 1                               // 000000007928: D1FF0032 02066B95
	v_cndmask_b32_e64 v55, v50, v52, s[34:35]                  // 000000007930: D1000037 008A6932
	v_perm_b32 v138, v55, v54, s52                             // 000000007938: D1ED008A 00D26D37
	v_cmp_u_f32_e64 s[34:35], v150, v150                       // 000000007940: D0480022 00032D96
	v_add3_u32 v50, v150, v53, 1                               // 000000007948: D1FF0032 02066B96
	v_cndmask_b32_e64 v54, v50, v52, s[34:35]                  // 000000007950: D1000036 008A6932
	v_cmp_u_f32_e64 s[34:35], v151, v151                       // 000000007958: D0480022 00032F97
	v_add3_u32 v50, v151, v53, 1                               // 000000007960: D1FF0032 02066B97
	v_cndmask_b32_e64 v55, v50, v52, s[34:35]                  // 000000007968: D1000037 008A6932
	v_perm_b32 v139, v55, v54, s52                             // 000000007970: D1ED008B 00D26D37
	v_cmp_u_f32_e64 s[34:35], v152, v152                       // 000000007978: D0480022 00033198
	v_add3_u32 v50, v152, v53, 1                               // 000000007980: D1FF0032 02066B98
	v_cndmask_b32_e64 v54, v50, v52, s[34:35]                  // 000000007988: D1000036 008A6932
	v_cmp_u_f32_e64 s[34:35], v153, v153                       // 000000007990: D0480022 00033399
	v_add3_u32 v50, v153, v53, 1                               // 000000007998: D1FF0032 02066B99
	v_cndmask_b32_e64 v55, v50, v52, s[34:35]                  // 0000000079A0: D1000037 008A6932
	v_perm_b32 v140, v55, v54, s52                             // 0000000079A8: D1ED008C 00D26D37
	v_cmp_u_f32_e64 s[34:35], v154, v154                       // 0000000079B0: D0480022 0003359A
	v_add3_u32 v50, v154, v53, 1                               // 0000000079B8: D1FF0032 02066B9A
	v_cndmask_b32_e64 v54, v50, v52, s[34:35]                  // 0000000079C0: D1000036 008A6932
	v_cmp_u_f32_e64 s[34:35], v155, v155                       // 0000000079C8: D0480022 0003379B
	v_add3_u32 v50, v155, v53, 1                               // 0000000079D0: D1FF0032 02066B9B
	v_cndmask_b32_e64 v55, v50, v52, s[34:35]                  // 0000000079D8: D1000037 008A6932
	v_perm_b32 v141, v55, v54, s52                             // 0000000079E0: D1ED008D 00D26D37
	v_cmp_u_f32_e64 s[34:35], v156, v156                       // 0000000079E8: D0480022 0003399C
	v_add3_u32 v50, v156, v53, 1                               // 0000000079F0: D1FF0032 02066B9C
	v_cndmask_b32_e64 v54, v50, v52, s[34:35]                  // 0000000079F8: D1000036 008A6932
	v_cmp_u_f32_e64 s[34:35], v157, v157                       // 000000007A00: D0480022 00033B9D
	v_add3_u32 v50, v157, v53, 1                               // 000000007A08: D1FF0032 02066B9D
	v_cndmask_b32_e64 v55, v50, v52, s[34:35]                  // 000000007A10: D1000037 008A6932
	v_perm_b32 v142, v55, v54, s52                             // 000000007A18: D1ED008E 00D26D37
	v_cmp_u_f32_e64 s[34:35], v158, v158                       // 000000007A20: D0480022 00033D9E
	v_add3_u32 v50, v158, v53, 1                               // 000000007A28: D1FF0032 02066B9E
	v_cndmask_b32_e64 v54, v50, v52, s[34:35]                  // 000000007A30: D1000036 008A6932
	v_cmp_u_f32_e64 s[34:35], v159, v159                       // 000000007A38: D0480022 00033F9F
	v_add3_u32 v50, v159, v53, 1                               // 000000007A40: D1FF0032 02066B9F
	v_cndmask_b32_e64 v55, v50, v52, s[34:35]                  // 000000007A48: D1000037 008A6932
	v_perm_b32 v143, v55, v54, s52                             // 000000007A50: D1ED008F 00D26D37
	v_cmp_u_f32_e64 s[34:35], v160, v160                       // 000000007A58: D0480022 000341A0
	v_add3_u32 v50, v160, v53, 1                               // 000000007A60: D1FF0032 02066BA0
	v_cndmask_b32_e64 v54, v50, v52, s[34:35]                  // 000000007A68: D1000036 008A6932
	v_cmp_u_f32_e64 s[34:35], v161, v161                       // 000000007A70: D0480022 000343A1
	v_add3_u32 v50, v161, v53, 1                               // 000000007A78: D1FF0032 02066BA1
	v_cndmask_b32_e64 v55, v50, v52, s[34:35]                  // 000000007A80: D1000037 008A6932
	v_perm_b32 v144, v55, v54, s52                             // 000000007A88: D1ED0090 00D26D37
	v_cmp_u_f32_e64 s[34:35], v162, v162                       // 000000007A90: D0480022 000345A2
	v_add3_u32 v50, v162, v53, 1                               // 000000007A98: D1FF0032 02066BA2
	v_cndmask_b32_e64 v54, v50, v52, s[34:35]                  // 000000007AA0: D1000036 008A6932
	v_cmp_u_f32_e64 s[34:35], v163, v163                       // 000000007AA8: D0480022 000347A3
	v_add3_u32 v50, v163, v53, 1                               // 000000007AB0: D1FF0032 02066BA3
	v_cndmask_b32_e64 v55, v50, v52, s[34:35]                  // 000000007AB8: D1000037 008A6932
	v_perm_b32 v145, v55, v54, s52                             // 000000007AC0: D1ED0091 00D26D37
	v_cmp_u_f32_e64 s[34:35], v164, v164                       // 000000007AC8: D0480022 000349A4
	v_add3_u32 v50, v164, v53, 1                               // 000000007AD0: D1FF0032 02066BA4
	v_cndmask_b32_e64 v54, v50, v52, s[34:35]                  // 000000007AD8: D1000036 008A6932
	v_cmp_u_f32_e64 s[34:35], v165, v165                       // 000000007AE0: D0480022 00034BA5
	v_add3_u32 v50, v165, v53, 1                               // 000000007AE8: D1FF0032 02066BA5
	v_cndmask_b32_e64 v55, v50, v52, s[34:35]                  // 000000007AF0: D1000037 008A6932
	v_perm_b32 v146, v55, v54, s52                             // 000000007AF8: D1ED0092 00D26D37
	v_cmp_u_f32_e64 s[34:35], v166, v166                       // 000000007B00: D0480022 00034DA6
	v_add3_u32 v50, v166, v53, 1                               // 000000007B08: D1FF0032 02066BA6
	v_cndmask_b32_e64 v54, v50, v52, s[34:35]                  // 000000007B10: D1000036 008A6932
	v_cmp_u_f32_e64 s[34:35], v167, v167                       // 000000007B18: D0480022 00034FA7
	v_add3_u32 v50, v167, v53, 1                               // 000000007B20: D1FF0032 02066BA7
	v_cndmask_b32_e64 v55, v50, v52, s[34:35]                  // 000000007B28: D1000037 008A6932
	v_perm_b32 v147, v55, v54, s52                             // 000000007B30: D1ED0093 00D26D37
	v_cmp_u_f32_e64 s[34:35], v168, v168                       // 000000007B38: D0480022 000351A8
	v_add3_u32 v50, v168, v53, 1                               // 000000007B40: D1FF0032 02066BA8
	v_cndmask_b32_e64 v54, v50, v52, s[34:35]                  // 000000007B48: D1000036 008A6932
	v_cmp_u_f32_e64 s[34:35], v169, v169                       // 000000007B50: D0480022 000353A9
	v_add3_u32 v50, v169, v53, 1                               // 000000007B58: D1FF0032 02066BA9
	v_cndmask_b32_e64 v55, v50, v52, s[34:35]                  // 000000007B60: D1000037 008A6932
	v_perm_b32 v148, v55, v54, s52                             // 000000007B68: D1ED0094 00D26D37
	v_cmp_u_f32_e64 s[34:35], v170, v170                       // 000000007B70: D0480022 000355AA
	v_add3_u32 v50, v170, v53, 1                               // 000000007B78: D1FF0032 02066BAA
	v_cndmask_b32_e64 v54, v50, v52, s[34:35]                  // 000000007B80: D1000036 008A6932
	v_cmp_u_f32_e64 s[34:35], v171, v171                       // 000000007B88: D0480022 000357AB
	v_add3_u32 v50, v171, v53, 1                               // 000000007B90: D1FF0032 02066BAB
	v_cndmask_b32_e64 v55, v50, v52, s[34:35]                  // 000000007B98: D1000037 008A6932
	v_perm_b32 v149, v55, v54, s52                             // 000000007BA0: D1ED0095 00D26D37
	v_cmp_u_f32_e64 s[34:35], v172, v172                       // 000000007BA8: D0480022 000359AC
	v_add3_u32 v50, v172, v53, 1                               // 000000007BB0: D1FF0032 02066BAC
	v_cndmask_b32_e64 v54, v50, v52, s[34:35]                  // 000000007BB8: D1000036 008A6932
	v_cmp_u_f32_e64 s[34:35], v173, v173                       // 000000007BC0: D0480022 00035BAD
	v_add3_u32 v50, v173, v53, 1                               // 000000007BC8: D1FF0032 02066BAD
	v_cndmask_b32_e64 v55, v50, v52, s[34:35]                  // 000000007BD0: D1000037 008A6932
	v_perm_b32 v150, v55, v54, s52                             // 000000007BD8: D1ED0096 00D26D37
	v_cmp_u_f32_e64 s[34:35], v174, v174                       // 000000007BE0: D0480022 00035DAE
	v_add3_u32 v50, v174, v53, 1                               // 000000007BE8: D1FF0032 02066BAE
	v_cndmask_b32_e64 v54, v50, v52, s[34:35]                  // 000000007BF0: D1000036 008A6932
	v_cmp_u_f32_e64 s[34:35], v175, v175                       // 000000007BF8: D0480022 00035FAF
	v_add3_u32 v50, v175, v53, 1                               // 000000007C00: D1FF0032 02066BAF
	v_cndmask_b32_e64 v55, v50, v52, s[34:35]                  // 000000007C08: D1000037 008A6932
	v_perm_b32 v151, v55, v54, s52                             // 000000007C10: D1ED0097 00D26D37
	v_cmp_u_f32_e64 s[34:35], v176, v176                       // 000000007C18: D0480022 000361B0
	v_add3_u32 v50, v176, v53, 1                               // 000000007C20: D1FF0032 02066BB0
	v_cndmask_b32_e64 v54, v50, v52, s[34:35]                  // 000000007C28: D1000036 008A6932
	v_cmp_u_f32_e64 s[34:35], v177, v177                       // 000000007C30: D0480022 000363B1
	v_add3_u32 v50, v177, v53, 1                               // 000000007C38: D1FF0032 02066BB1
	v_cndmask_b32_e64 v55, v50, v52, s[34:35]                  // 000000007C40: D1000037 008A6932
	v_perm_b32 v152, v55, v54, s52                             // 000000007C48: D1ED0098 00D26D37
	v_cmp_u_f32_e64 s[34:35], v178, v178                       // 000000007C50: D0480022 000365B2
	v_add3_u32 v50, v178, v53, 1                               // 000000007C58: D1FF0032 02066BB2
	v_cndmask_b32_e64 v54, v50, v52, s[34:35]                  // 000000007C60: D1000036 008A6932
	v_cmp_u_f32_e64 s[34:35], v179, v179                       // 000000007C68: D0480022 000367B3
	v_add3_u32 v50, v179, v53, 1                               // 000000007C70: D1FF0032 02066BB3
	v_cndmask_b32_e64 v55, v50, v52, s[34:35]                  // 000000007C78: D1000037 008A6932
	v_perm_b32 v153, v55, v54, s52                             // 000000007C80: D1ED0099 00D26D37
	v_cmp_u_f32_e64 s[34:35], v180, v180                       // 000000007C88: D0480022 000369B4
	v_add3_u32 v50, v180, v53, 1                               // 000000007C90: D1FF0032 02066BB4
	v_cndmask_b32_e64 v54, v50, v52, s[34:35]                  // 000000007C98: D1000036 008A6932
	v_cmp_u_f32_e64 s[34:35], v181, v181                       // 000000007CA0: D0480022 00036BB5
	v_add3_u32 v50, v181, v53, 1                               // 000000007CA8: D1FF0032 02066BB5
	v_cndmask_b32_e64 v55, v50, v52, s[34:35]                  // 000000007CB0: D1000037 008A6932
	v_perm_b32 v154, v55, v54, s52                             // 000000007CB8: D1ED009A 00D26D37
	v_cmp_u_f32_e64 s[34:35], v182, v182                       // 000000007CC0: D0480022 00036DB6
	v_add3_u32 v50, v182, v53, 1                               // 000000007CC8: D1FF0032 02066BB6
	v_cndmask_b32_e64 v54, v50, v52, s[34:35]                  // 000000007CD0: D1000036 008A6932
	v_cmp_u_f32_e64 s[34:35], v183, v183                       // 000000007CD8: D0480022 00036FB7
	v_add3_u32 v50, v183, v53, 1                               // 000000007CE0: D1FF0032 02066BB7
	v_cndmask_b32_e64 v55, v50, v52, s[34:35]                  // 000000007CE8: D1000037 008A6932
	v_perm_b32 v155, v55, v54, s52                             // 000000007CF0: D1ED009B 00D26D37
	v_cmp_u_f32_e64 s[34:35], v184, v184                       // 000000007CF8: D0480022 000371B8
	v_add3_u32 v50, v184, v53, 1                               // 000000007D00: D1FF0032 02066BB8
	v_cndmask_b32_e64 v54, v50, v52, s[34:35]                  // 000000007D08: D1000036 008A6932
	v_cmp_u_f32_e64 s[34:35], v185, v185                       // 000000007D10: D0480022 000373B9
	v_add3_u32 v50, v185, v53, 1                               // 000000007D18: D1FF0032 02066BB9
	v_cndmask_b32_e64 v55, v50, v52, s[34:35]                  // 000000007D20: D1000037 008A6932
	v_perm_b32 v156, v55, v54, s52                             // 000000007D28: D1ED009C 00D26D37
	v_cmp_u_f32_e64 s[34:35], v186, v186                       // 000000007D30: D0480022 000375BA
	v_add3_u32 v50, v186, v53, 1                               // 000000007D38: D1FF0032 02066BBA
	v_cndmask_b32_e64 v54, v50, v52, s[34:35]                  // 000000007D40: D1000036 008A6932
	v_cmp_u_f32_e64 s[34:35], v187, v187                       // 000000007D48: D0480022 000377BB
	v_add3_u32 v50, v187, v53, 1                               // 000000007D50: D1FF0032 02066BBB
	v_cndmask_b32_e64 v55, v50, v52, s[34:35]                  // 000000007D58: D1000037 008A6932
	v_perm_b32 v157, v55, v54, s52                             // 000000007D60: D1ED009D 00D26D37
	v_cmp_u_f32_e64 s[34:35], v188, v188                       // 000000007D68: D0480022 000379BC
	v_add3_u32 v50, v188, v53, 1                               // 000000007D70: D1FF0032 02066BBC
	v_cndmask_b32_e64 v54, v50, v52, s[34:35]                  // 000000007D78: D1000036 008A6932
	v_cmp_u_f32_e64 s[34:35], v189, v189                       // 000000007D80: D0480022 00037BBD
	v_add3_u32 v50, v189, v53, 1                               // 000000007D88: D1FF0032 02066BBD
	v_cndmask_b32_e64 v55, v50, v52, s[34:35]                  // 000000007D90: D1000037 008A6932
	v_perm_b32 v158, v55, v54, s52                             // 000000007D98: D1ED009E 00D26D37
	v_cmp_u_f32_e64 s[34:35], v190, v190                       // 000000007DA0: D0480022 00037DBE
	v_add3_u32 v50, v190, v53, 1                               // 000000007DA8: D1FF0032 02066BBE
	v_cndmask_b32_e64 v54, v50, v52, s[34:35]                  // 000000007DB0: D1000036 008A6932
	v_cmp_u_f32_e64 s[34:35], v191, v191                       // 000000007DB8: D0480022 00037FBF
	v_add3_u32 v50, v191, v53, 1                               // 000000007DC0: D1FF0032 02066BBF
	v_cndmask_b32_e64 v55, v50, v52, s[34:35]                  // 000000007DC8: D1000037 008A6932
	v_perm_b32 v159, v55, v54, s52                             // 000000007DD0: D1ED009F 00D26D37
	v_lshlrev_b32_e32 v54, 3, v0                               // 000000007DD8: 246C0083
	s_mul_i32 s60, 0x200, s7                                   // 000000007DDC: 923C07FF 00000200
	v_add_u32_e64 v54, v54, s60                                // 000000007DE4: D1340036 00007936
	ds_write_b64 v54, v[128:129] offset:16640                  // 000000007DEC: D89A4100 00008036
	ds_write_b64 v54, v[130:131] offset:33024                  // 000000007DF4: D89A8100 00008236
	ds_write_b64 v54, v[132:133] offset:18688                  // 000000007DFC: D89A4900 00008436
	ds_write_b64 v54, v[134:135] offset:35072                  // 000000007E04: D89A8900 00008636
	ds_write_b64 v54, v[136:137] offset:20736                  // 000000007E0C: D89A5100 00008836
	ds_write_b64 v54, v[138:139] offset:37120                  // 000000007E14: D89A9100 00008A36
	ds_write_b64 v54, v[140:141] offset:22784                  // 000000007E1C: D89A5900 00008C36
	ds_write_b64 v54, v[142:143] offset:39168                  // 000000007E24: D89A9900 00008E36
	ds_write_b64 v54, v[144:145] offset:24832                  // 000000007E2C: D89A6100 00009036
	ds_write_b64 v54, v[146:147] offset:41216                  // 000000007E34: D89AA100 00009236
	ds_write_b64 v54, v[148:149] offset:26880                  // 000000007E3C: D89A6900 00009436
	ds_write_b64 v54, v[150:151] offset:43264                  // 000000007E44: D89AA900 00009636
	ds_write_b64 v54, v[152:153] offset:28928                  // 000000007E4C: D89A7100 00009836
	ds_write_b64 v54, v[154:155] offset:45312                  // 000000007E54: D89AB100 00009A36
	ds_write_b64 v54, v[156:157] offset:30976                  // 000000007E5C: D89A7900 00009C36
	ds_write_b64 v54, v[158:159] offset:47360                  // 000000007E64: D89AB900 00009E36
	s_waitcnt lgkmcnt(0)                                       // 000000007E6C: BF8CC07F
	s_barrier                                                  // 000000007E70: BF8A0000
	v_lshrrev_b32_e32 v54, 4, v0                               // 000000007E74: 206C0084
	v_lshlrev_b32_e32 v55, 6, v54                              // 000000007E78: 246E6C86
	v_and_b32_e32 v54, 15, v0                                  // 000000007E7C: 266C008F
	v_lshlrev_b32_e32 v54, 1, v54                              // 000000007E80: 246C6C81
	v_add_u32_e32 v55, v54, v55                                // 000000007E84: 686E6F36
	v_lshlrev_b32_e32 v54, 2, v55                              // 000000007E88: 246C6E82
	ds_read_b64 v[128:129], v54 offset:16640                   // 000000007E8C: D8EC4100 80000036
	ds_read_b64 v[130:131], v54 offset:16768                   // 000000007E94: D8EC4180 82000036
	ds_read_b64 v[132:133], v54 offset:17664                   // 000000007E9C: D8EC4500 84000036
	ds_read_b64 v[134:135], v54 offset:17792                   // 000000007EA4: D8EC4580 86000036
	ds_read_b64 v[136:137], v54 offset:18688                   // 000000007EAC: D8EC4900 88000036
	ds_read_b64 v[138:139], v54 offset:18816                   // 000000007EB4: D8EC4980 8A000036
	ds_read_b64 v[140:141], v54 offset:19712                   // 000000007EBC: D8EC4D00 8C000036
	ds_read_b64 v[142:143], v54 offset:19840                   // 000000007EC4: D8EC4D80 8E000036
	ds_read_b64 v[144:145], v54 offset:20736                   // 000000007ECC: D8EC5100 90000036
	ds_read_b64 v[146:147], v54 offset:20864                   // 000000007ED4: D8EC5180 92000036
	ds_read_b64 v[148:149], v54 offset:21760                   // 000000007EDC: D8EC5500 94000036
	ds_read_b64 v[150:151], v54 offset:21888                   // 000000007EE4: D8EC5580 96000036
	ds_read_b64 v[152:153], v54 offset:22784                   // 000000007EEC: D8EC5900 98000036
	ds_read_b64 v[154:155], v54 offset:22912                   // 000000007EF4: D8EC5980 9A000036
	ds_read_b64 v[156:157], v54 offset:23808                   // 000000007EFC: D8EC5D00 9C000036
	ds_read_b64 v[158:159], v54 offset:23936                   // 000000007F04: D8EC5D80 9E000036
	ds_read_b64 v[160:161], v54 offset:24832                   // 000000007F0C: D8EC6100 A0000036
	ds_read_b64 v[162:163], v54 offset:24960                   // 000000007F14: D8EC6180 A2000036
	ds_read_b64 v[164:165], v54 offset:25856                   // 000000007F1C: D8EC6500 A4000036
	ds_read_b64 v[166:167], v54 offset:25984                   // 000000007F24: D8EC6580 A6000036
	ds_read_b64 v[168:169], v54 offset:26880                   // 000000007F2C: D8EC6900 A8000036
	ds_read_b64 v[170:171], v54 offset:27008                   // 000000007F34: D8EC6980 AA000036
	ds_read_b64 v[172:173], v54 offset:27904                   // 000000007F3C: D8EC6D00 AC000036
	ds_read_b64 v[174:175], v54 offset:28032                   // 000000007F44: D8EC6D80 AE000036
	ds_read_b64 v[176:177], v54 offset:28928                   // 000000007F4C: D8EC7100 B0000036
	ds_read_b64 v[178:179], v54 offset:29056                   // 000000007F54: D8EC7180 B2000036
	ds_read_b64 v[180:181], v54 offset:29952                   // 000000007F5C: D8EC7500 B4000036
	ds_read_b64 v[182:183], v54 offset:30080                   // 000000007F64: D8EC7580 B6000036
	ds_read_b64 v[184:185], v54 offset:30976                   // 000000007F6C: D8EC7900 B8000036
	ds_read_b64 v[186:187], v54 offset:31104                   // 000000007F74: D8EC7980 BA000036
	ds_read_b64 v[188:189], v54 offset:32000                   // 000000007F7C: D8EC7D00 BC000036
	ds_read_b64 v[190:191], v54 offset:32128                   // 000000007F84: D8EC7D80 BE000036
	ds_read_b64 v[192:193], v54 offset:33024                   // 000000007F8C: D8EC8100 C0000036
	ds_read_b64 v[194:195], v54 offset:33152                   // 000000007F94: D8EC8180 C2000036
	ds_read_b64 v[196:197], v54 offset:34048                   // 000000007F9C: D8EC8500 C4000036
	ds_read_b64 v[198:199], v54 offset:34176                   // 000000007FA4: D8EC8580 C6000036
	ds_read_b64 v[200:201], v54 offset:35072                   // 000000007FAC: D8EC8900 C8000036
	ds_read_b64 v[202:203], v54 offset:35200                   // 000000007FB4: D8EC8980 CA000036
	ds_read_b64 v[204:205], v54 offset:36096                   // 000000007FBC: D8EC8D00 CC000036
	ds_read_b64 v[206:207], v54 offset:36224                   // 000000007FC4: D8EC8D80 CE000036
	ds_read_b64 v[208:209], v54 offset:37120                   // 000000007FCC: D8EC9100 D0000036
	ds_read_b64 v[210:211], v54 offset:37248                   // 000000007FD4: D8EC9180 D2000036
	ds_read_b64 v[212:213], v54 offset:38144                   // 000000007FDC: D8EC9500 D4000036
	ds_read_b64 v[214:215], v54 offset:38272                   // 000000007FE4: D8EC9580 D6000036
	ds_read_b64 v[216:217], v54 offset:39168                   // 000000007FEC: D8EC9900 D8000036
	ds_read_b64 v[218:219], v54 offset:39296                   // 000000007FF4: D8EC9980 DA000036
	ds_read_b64 v[220:221], v54 offset:40192                   // 000000007FFC: D8EC9D00 DC000036
	ds_read_b64 v[222:223], v54 offset:40320                   // 000000008004: D8EC9D80 DE000036
	ds_read_b64 v[224:225], v54 offset:41216                   // 00000000800C: D8ECA100 E0000036
	ds_read_b64 v[226:227], v54 offset:41344                   // 000000008014: D8ECA180 E2000036
	ds_read_b64 v[228:229], v54 offset:42240                   // 00000000801C: D8ECA500 E4000036
	ds_read_b64 v[230:231], v54 offset:42368                   // 000000008024: D8ECA580 E6000036
	ds_read_b64 v[232:233], v54 offset:43264                   // 00000000802C: D8ECA900 E8000036
	ds_read_b64 v[234:235], v54 offset:43392                   // 000000008034: D8ECA980 EA000036
	ds_read_b64 v[236:237], v54 offset:44288                   // 00000000803C: D8ECAD00 EC000036
	ds_read_b64 v[238:239], v54 offset:44416                   // 000000008044: D8ECAD80 EE000036
	ds_read_b64 v[240:241], v54 offset:45312                   // 00000000804C: D8ECB100 F0000036
	ds_read_b64 v[242:243], v54 offset:45440                   // 000000008054: D8ECB180 F2000036
	ds_read_b64 v[244:245], v54 offset:46336                   // 00000000805C: D8ECB500 F4000036
	ds_read_b64 v[246:247], v54 offset:46464                   // 000000008064: D8ECB580 F6000036
	ds_read_b64 v[248:249], v54 offset:47360                   // 00000000806C: D8ECB900 F8000036
	ds_read_b64 v[250:251], v54 offset:47488                   // 000000008074: D8ECB980 FA000036
	ds_read_b64 v[252:253], v54 offset:48384                   // 00000000807C: D8ECBD00 FC000036
	ds_read_b64 v[254:255], v54 offset:48512                   // 000000008084: D8ECBD80 FE000036
	s_add_u32 s12, s56, s12                                    // 00000000808C: 800C0C38
	s_addc_u32 s13, 0, s13                                     // 000000008090: 820D0D80
	v_mov_b32_e32 v64, 0                                       // 000000008094: 7E800280
	v_mov_b32_e32 v80, 0                                       // 000000008098: 7EA00280
	v_mov_b32_e32 v65, 0                                       // 00000000809C: 7E820280
	v_mov_b32_e32 v81, 0                                       // 0000000080A0: 7EA20280
	v_mov_b32_e32 v66, 0                                       // 0000000080A4: 7E840280
	v_mov_b32_e32 v82, 0                                       // 0000000080A8: 7EA40280
	v_mov_b32_e32 v67, 0                                       // 0000000080AC: 7E860280
	v_mov_b32_e32 v83, 0                                       // 0000000080B0: 7EA60280
	v_mov_b32_e32 v68, 0                                       // 0000000080B4: 7E880280
	v_mov_b32_e32 v84, 0                                       // 0000000080B8: 7EA80280
	v_mov_b32_e32 v69, 0                                       // 0000000080BC: 7E8A0280
	v_mov_b32_e32 v85, 0                                       // 0000000080C0: 7EAA0280
	v_mov_b32_e32 v70, 0                                       // 0000000080C4: 7E8C0280
	v_mov_b32_e32 v86, 0                                       // 0000000080C8: 7EAC0280
	v_mov_b32_e32 v71, 0                                       // 0000000080CC: 7E8E0280
	v_mov_b32_e32 v87, 0                                       // 0000000080D0: 7EAE0280
	ds_write_b64 v3, v[64:65] offset:16640                     // 0000000080D4: D89A4100 00004003
	ds_write_b64 v3, v[66:67] offset:20992                     // 0000000080DC: D89A5200 00004203
	ds_write_b64 v3, v[68:69] offset:18816                     // 0000000080E4: D89A4980 00004403
	ds_write_b64 v3, v[70:71] offset:23168                     // 0000000080EC: D89A5A80 00004603
	s_mov_b32 s80, 0                                           // 0000000080F4: BED00080
	s_waitcnt vmcnt(24)                                        // 0000000080F8: BF8C4F78

00000000000080fc <label_14BF>:
	s_waitcnt vmcnt(30) lgkmcnt(0)                             // 0000000080FC: BF8C407E
	s_barrier                                                  // 000000008100: BF8A0000
	v_mfma_f32_16x16x16_bf16 v[64:67], a[0:1], v[128:129], 0   // 000000008104: D3E10040 0A030100
	buffer_load_dwordx4 a[128:131], v18, s[12:15], 0 offen     // 00000000810C: E05C1000 80838012
	v_mfma_f32_16x16x16_bf16 v[64:67], a[2:3], v[130:131], v[64:67]// 000000008114: D3E10040 0D030502
	ds_read_b32 v10, v4 offset:16640                           // 00000000811C: D86C4100 0A000004
	ds_read_b32 v11, v4 offset:16672                           // 000000008124: D86C4120 0B000004
	v_mfma_f32_16x16x16_bf16 v[64:67], a[4:5], v[132:133], v[64:67]// 00000000812C: D3E10040 0D030904
	v_mfma_f32_16x16x16_bf16 v[64:67], a[6:7], v[134:135], v[64:67]// 000000008134: D3E10040 0D030D06
	ds_read_b32 v12, v4 offset:16704                           // 00000000813C: D86C4140 0C000004
	ds_read_b32 v13, v4 offset:16736                           // 000000008144: D86C4160 0D000004
	v_mfma_f32_16x16x16_bf16 v[64:67], a[8:9], v[136:137], v[64:67]// 00000000814C: D3E10040 0D031108
	buffer_load_dwordx4 a[132:135], v18, s[12:15], 0 offen offset:1024// 000000008154: E05C1400 80838412
	v_mfma_f32_16x16x16_bf16 v[64:67], a[10:11], v[138:139], v[64:67]// 00000000815C: D3E10040 0D03150A
	ds_read_b32 v14, v4 offset:20992                           // 000000008164: D86C5200 0E000004
	ds_read_b32 v15, v4 offset:21024                           // 00000000816C: D86C5220 0F000004
	v_mfma_f32_16x16x16_bf16 v[64:67], a[12:13], v[140:141], v[64:67]// 000000008174: D3E10040 0D03190C
	v_mfma_f32_16x16x16_bf16 v[64:67], a[14:15], v[142:143], v[64:67]// 00000000817C: D3E10040 0D031D0E
	ds_read_b32 v16, v4 offset:21056                           // 000000008184: D86C5240 10000004
	ds_read_b32 v17, v4 offset:21088                           // 00000000818C: D86C5260 11000004
	v_mfma_f32_16x16x16_bf16 v[68:71], a[0:1], v[192:193], 0   // 000000008194: D3E10044 0A038100
	buffer_load_dwordx4 a[136:139], v18, s[12:15], 0 offen offset:2048// 00000000819C: E05C1800 80838812
	v_mfma_f32_16x16x16_bf16 v[68:71], a[2:3], v[194:195], v[68:71]// 0000000081A4: D3E10044 0D138502
	v_mfma_f32_16x16x16_bf16 v[68:71], a[4:5], v[196:197], v[68:71]// 0000000081AC: D3E10044 0D138904
	v_mfma_f32_16x16x16_bf16 v[68:71], a[6:7], v[198:199], v[68:71]// 0000000081B4: D3E10044 0D138D06
	v_mfma_f32_16x16x16_bf16 v[68:71], a[8:9], v[200:201], v[68:71]// 0000000081BC: D3E10044 0D139108
	buffer_load_dwordx4 a[140:143], v18, s[12:15], 0 offen offset:3072// 0000000081C4: E05C1C00 80838C12
	v_mfma_f32_16x16x16_bf16 v[68:71], a[10:11], v[202:203], v[68:71]// 0000000081CC: D3E10044 0D13950A
	v_mfma_f32_16x16x16_bf16 v[68:71], a[12:13], v[204:205], v[68:71]// 0000000081D4: D3E10044 0D13990C
	s_waitcnt lgkmcnt(0)                                       // 0000000081DC: BF8CC07F
	s_mov_b64 exec, s[16:17]                                   // 0000000081E0: BEFE0110
	global_atomic_pk_add_f16 v34, v10, s[8:9]                  // 0000000081E4: DD388000 00080A22
	s_mov_b64 exec, s[38:39]                                   // 0000000081EC: BEFE0126
	v_mfma_f32_16x16x16_bf16 v[68:71], a[14:15], v[206:207], v[68:71]// 0000000081F0: D3E10044 0D139D0E
	v_mfma_f32_16x16x16_bf16 v[72:75], a[16:17], v[128:129], 0 // 0000000081F8: D3E10048 0A030110
	buffer_load_dwordx4 a[144:147], v19, s[12:15], 0 offen     // 000000008200: E05C1000 80839013
	v_mfma_f32_16x16x16_bf16 v[72:75], a[18:19], v[130:131], v[72:75]// 000000008208: D3E10048 0D230512
	v_mfma_f32_16x16x16_bf16 v[72:75], a[20:21], v[132:133], v[72:75]// 000000008210: D3E10048 0D230914
	v_mfma_f32_16x16x16_bf16 v[72:75], a[22:23], v[134:135], v[72:75]// 000000008218: D3E10048 0D230D16
	v_mfma_f32_16x16x16_bf16 v[72:75], a[24:25], v[136:137], v[72:75]// 000000008220: D3E10048 0D231118
	buffer_load_dwordx4 a[148:151], v19, s[12:15], 0 offen offset:1024// 000000008228: E05C1400 80839413
	v_mfma_f32_16x16x16_bf16 v[72:75], a[26:27], v[138:139], v[72:75]// 000000008230: D3E10048 0D23151A
	v_mfma_f32_16x16x16_bf16 v[72:75], a[28:29], v[140:141], v[72:75]// 000000008238: D3E10048 0D23191C
	v_mfma_f32_16x16x16_bf16 v[72:75], a[30:31], v[142:143], v[72:75]// 000000008240: D3E10048 0D231D1E
	v_mfma_f32_16x16x16_bf16 v[76:79], a[16:17], v[192:193], 0 // 000000008248: D3E1004C 0A038110
	buffer_load_dwordx4 a[152:155], v19, s[12:15], 0 offen offset:2048// 000000008250: E05C1800 80839813
	v_mfma_f32_16x16x16_bf16 v[76:79], a[18:19], v[194:195], v[76:79]// 000000008258: D3E1004C 0D338512
	v_mfma_f32_16x16x16_bf16 v[76:79], a[20:21], v[196:197], v[76:79]// 000000008260: D3E1004C 0D338914
	v_mfma_f32_16x16x16_bf16 v[76:79], a[22:23], v[198:199], v[76:79]// 000000008268: D3E1004C 0D338D16
	v_mfma_f32_16x16x16_bf16 v[76:79], a[24:25], v[200:201], v[76:79]// 000000008270: D3E1004C 0D339118
	buffer_load_dwordx4 a[156:159], v19, s[12:15], 0 offen offset:3072// 000000008278: E05C1C00 80839C13
	v_mfma_f32_16x16x16_bf16 v[76:79], a[26:27], v[202:203], v[76:79]// 000000008280: D3E1004C 0D33951A
	v_mfma_f32_16x16x16_bf16 v[76:79], a[28:29], v[204:205], v[76:79]// 000000008288: D3E1004C 0D33991C
	s_mov_b64 exec, s[18:19]                                   // 000000008290: BEFE0112
	global_atomic_pk_add_f16 v36, v11, s[8:9]                  // 000000008294: DD388000 00080B24
	s_mov_b64 exec, s[38:39]                                   // 00000000829C: BEFE0126
	v_mfma_f32_16x16x16_bf16 v[76:79], a[30:31], v[206:207], v[76:79]// 0000000082A0: D3E1004C 0D339D1E
	s_waitcnt vmcnt(30)                                        // 0000000082A8: BF8C4F7E
	v_mfma_f32_16x16x16_bf16 v[64:67], a[32:33], v[144:145], v[64:67]// 0000000082AC: D3E10040 0D032120
	buffer_load_dwordx4 a[160:163], v20, s[12:15], 0 offen     // 0000000082B4: E05C1000 8083A014
	v_mfma_f32_16x16x16_bf16 v[64:67], a[34:35], v[146:147], v[64:67]// 0000000082BC: D3E10040 0D032522
	ds_write_b64 v3, v[80:81] offset:25344                     // 0000000082C4: D89A6300 00005003
	v_mfma_f32_16x16x16_bf16 v[64:67], a[36:37], v[148:149], v[64:67]// 0000000082CC: D3E10040 0D032924
	v_mfma_f32_16x16x16_bf16 v[64:67], a[38:39], v[150:151], v[64:67]// 0000000082D4: D3E10040 0D032D26
	ds_write_b64 v3, v[82:83] offset:29696                     // 0000000082DC: D89A7400 00005203
	v_mfma_f32_16x16x16_bf16 v[64:67], a[40:41], v[152:153], v[64:67]// 0000000082E4: D3E10040 0D033128
	buffer_load_dwordx4 a[164:167], v20, s[12:15], 0 offen offset:1024// 0000000082EC: E05C1400 8083A414
	v_mfma_f32_16x16x16_bf16 v[64:67], a[42:43], v[154:155], v[64:67]// 0000000082F4: D3E10040 0D03352A
	ds_write_b64 v3, v[84:85] offset:27520                     // 0000000082FC: D89A6B80 00005403
	v_mfma_f32_16x16x16_bf16 v[64:67], a[44:45], v[156:157], v[64:67]// 000000008304: D3E10040 0D03392C
	v_mfma_f32_16x16x16_bf16 v[64:67], a[46:47], v[158:159], v[64:67]// 00000000830C: D3E10040 0D033D2E
	ds_write_b64 v3, v[86:87] offset:31872                     // 000000008314: D89A7C80 00005603
	v_mfma_f32_16x16x16_bf16 v[68:71], a[32:33], v[208:209], v[68:71]// 00000000831C: D3E10044 0D13A120
	buffer_load_dwordx4 a[168:171], v20, s[12:15], 0 offen offset:2048// 000000008324: E05C1800 8083A814
	v_mfma_f32_16x16x16_bf16 v[68:71], a[34:35], v[210:211], v[68:71]// 00000000832C: D3E10044 0D13A522
	v_mfma_f32_16x16x16_bf16 v[68:71], a[36:37], v[212:213], v[68:71]// 000000008334: D3E10044 0D13A924
	v_mfma_f32_16x16x16_bf16 v[68:71], a[38:39], v[214:215], v[68:71]// 00000000833C: D3E10044 0D13AD26
	v_mfma_f32_16x16x16_bf16 v[68:71], a[40:41], v[216:217], v[68:71]// 000000008344: D3E10044 0D13B128
	buffer_load_dwordx4 a[172:175], v20, s[12:15], 0 offen offset:3072// 00000000834C: E05C1C00 8083AC14
	v_mfma_f32_16x16x16_bf16 v[68:71], a[42:43], v[218:219], v[68:71]// 000000008354: D3E10044 0D13B52A
	v_mfma_f32_16x16x16_bf16 v[68:71], a[44:45], v[220:221], v[68:71]// 00000000835C: D3E10044 0D13B92C
	s_mov_b64 exec, s[20:21]                                   // 000000008364: BEFE0114
	global_atomic_pk_add_f16 v38, v12, s[8:9]                  // 000000008368: DD388000 00080C26
	s_mov_b64 exec, s[38:39]                                   // 000000008370: BEFE0126
	v_mfma_f32_16x16x16_bf16 v[68:71], a[46:47], v[222:223], v[68:71]// 000000008374: D3E10044 0D13BD2E
	v_mfma_f32_16x16x16_bf16 v[72:75], a[48:49], v[144:145], v[72:75]// 00000000837C: D3E10048 0D232130
	buffer_load_dwordx4 a[176:179], v21, s[12:15], 0 offen     // 000000008384: E05C1000 8083B015
	v_mfma_f32_16x16x16_bf16 v[72:75], a[50:51], v[146:147], v[72:75]// 00000000838C: D3E10048 0D232532
	v_mfma_f32_16x16x16_bf16 v[72:75], a[52:53], v[148:149], v[72:75]// 000000008394: D3E10048 0D232934
	v_mfma_f32_16x16x16_bf16 v[72:75], a[54:55], v[150:151], v[72:75]// 00000000839C: D3E10048 0D232D36
	v_mfma_f32_16x16x16_bf16 v[72:75], a[56:57], v[152:153], v[72:75]// 0000000083A4: D3E10048 0D233138
	buffer_load_dwordx4 a[180:183], v21, s[12:15], 0 offen offset:1024// 0000000083AC: E05C1400 8083B415
	v_mfma_f32_16x16x16_bf16 v[72:75], a[58:59], v[154:155], v[72:75]// 0000000083B4: D3E10048 0D23353A
	v_mfma_f32_16x16x16_bf16 v[72:75], a[60:61], v[156:157], v[72:75]// 0000000083BC: D3E10048 0D23393C
	v_mfma_f32_16x16x16_bf16 v[72:75], a[62:63], v[158:159], v[72:75]// 0000000083C4: D3E10048 0D233D3E
	v_mfma_f32_16x16x16_bf16 v[76:79], a[48:49], v[208:209], v[76:79]// 0000000083CC: D3E1004C 0D33A130
	buffer_load_dwordx4 a[184:187], v21, s[12:15], 0 offen offset:2048// 0000000083D4: E05C1800 8083B815
	v_mfma_f32_16x16x16_bf16 v[76:79], a[50:51], v[210:211], v[76:79]// 0000000083DC: D3E1004C 0D33A532
	v_mfma_f32_16x16x16_bf16 v[76:79], a[52:53], v[212:213], v[76:79]// 0000000083E4: D3E1004C 0D33A934
	v_mfma_f32_16x16x16_bf16 v[76:79], a[54:55], v[214:215], v[76:79]// 0000000083EC: D3E1004C 0D33AD36
	v_mfma_f32_16x16x16_bf16 v[76:79], a[56:57], v[216:217], v[76:79]// 0000000083F4: D3E1004C 0D33B138
	buffer_load_dwordx4 a[188:191], v21, s[12:15], 0 offen offset:3072// 0000000083FC: E05C1C00 8083BC15
	v_mfma_f32_16x16x16_bf16 v[76:79], a[58:59], v[218:219], v[76:79]// 000000008404: D3E1004C 0D33B53A
	v_mfma_f32_16x16x16_bf16 v[76:79], a[60:61], v[220:221], v[76:79]// 00000000840C: D3E1004C 0D33B93C
	s_mov_b64 exec, s[22:23]                                   // 000000008414: BEFE0116
	global_atomic_pk_add_f16 v40, v13, s[8:9]                  // 000000008418: DD388000 00080D28
	s_mov_b64 exec, s[38:39]                                   // 000000008420: BEFE0126
	v_mfma_f32_16x16x16_bf16 v[76:79], a[62:63], v[222:223], v[76:79]// 000000008424: D3E1004C 0D33BD3E
	s_waitcnt vmcnt(30)                                        // 00000000842C: BF8C4F7E
	v_mfma_f32_16x16x16_bf16 v[64:67], a[64:65], v[160:161], v[64:67]// 000000008430: D3E10040 0D034140
	buffer_load_dwordx4 a[192:195], v22, s[12:15], 0 offen     // 000000008438: E05C1000 8083C016
	v_mfma_f32_16x16x16_bf16 v[64:67], a[66:67], v[162:163], v[64:67]// 000000008440: D3E10040 0D034542
	v_mfma_f32_16x16x16_bf16 v[64:67], a[68:69], v[164:165], v[64:67]// 000000008448: D3E10040 0D034944
	s_add_u32 s60, 0x100, s80                                  // 000000008450: 803C50FF 00000100
	s_cmp_lt_u32 s60, s81                                      // 000000008458: BF0A513C
	s_cselect_b32 s56, s56, 0                                  // 00000000845C: 85388038
	v_mfma_f32_16x16x16_bf16 v[64:67], a[70:71], v[166:167], v[64:67]// 000000008460: D3E10040 0D034D46
	v_mfma_f32_16x16x16_bf16 v[64:67], a[72:73], v[168:169], v[64:67]// 000000008468: D3E10040 0D035148
	buffer_load_dwordx4 a[196:199], v22, s[12:15], 0 offen offset:1024// 000000008470: E05C1400 8083C416
	v_mfma_f32_16x16x16_bf16 v[64:67], a[74:75], v[170:171], v[64:67]// 000000008478: D3E10040 0D03554A
	v_mfma_f32_16x16x16_bf16 v[64:67], a[76:77], v[172:173], v[64:67]// 000000008480: D3E10040 0D03594C
	s_cmp_ge_u32 s80, 0x100                                    // 000000008488: BF09FF50 00000100
	s_cselect_b32 s59, 0x100, s59                              // 000000008490: 853B3BFF 00000100
	v_mfma_f32_16x16x16_bf16 v[64:67], a[78:79], v[174:175], v[64:67]// 000000008498: D3E10040 0D035D4E
	v_mfma_f32_16x16x16_bf16 v[68:71], a[64:65], v[224:225], v[68:71]// 0000000084A0: D3E10044 0D13C140
	buffer_load_dwordx4 a[200:203], v22, s[12:15], 0 offen offset:2048// 0000000084A8: E05C1800 8083C816
	v_mfma_f32_16x16x16_bf16 v[68:71], a[66:67], v[226:227], v[68:71]// 0000000084B0: D3E10044 0D13C542
	v_mfma_f32_16x16x16_bf16 v[68:71], a[68:69], v[228:229], v[68:71]// 0000000084B8: D3E10044 0D13C944
	s_add_u32 s16, s57, s16                                    // 0000000084C0: 80101039
	s_addc_u32 s17, 0, s17                                     // 0000000084C4: 82111180
	v_mfma_f32_16x16x16_bf16 v[68:71], a[70:71], v[230:231], v[68:71]// 0000000084C8: D3E10044 0D13CD46
	v_mfma_f32_16x16x16_bf16 v[68:71], a[72:73], v[232:233], v[68:71]// 0000000084D0: D3E10044 0D13D148
	buffer_load_dwordx4 a[204:207], v22, s[12:15], 0 offen offset:3072// 0000000084D8: E05C1C00 8083CC16
	v_mfma_f32_16x16x16_bf16 v[68:71], a[74:75], v[234:235], v[68:71]// 0000000084E0: D3E10044 0D13D54A
	v_mfma_f32_16x16x16_bf16 v[68:71], a[76:77], v[236:237], v[68:71]// 0000000084E8: D3E10044 0D13D94C
	s_mov_b64 exec, s[24:25]                                   // 0000000084F0: BEFE0118
	global_atomic_pk_add_f16 v42, v14, s[8:9]                  // 0000000084F4: DD388000 00080E2A
	s_mov_b64 exec, s[38:39]                                   // 0000000084FC: BEFE0126
	v_mfma_f32_16x16x16_bf16 v[68:71], a[78:79], v[238:239], v[68:71]// 000000008500: D3E10044 0D13DD4E
	v_mfma_f32_16x16x16_bf16 v[72:75], a[80:81], v[160:161], v[72:75]// 000000008508: D3E10048 0D234150
	buffer_load_dwordx4 a[208:211], v23, s[12:15], 0 offen     // 000000008510: E05C1000 8083D017
	v_mfma_f32_16x16x16_bf16 v[72:75], a[82:83], v[162:163], v[72:75]// 000000008518: D3E10048 0D234552
	v_mfma_f32_16x16x16_bf16 v[72:75], a[84:85], v[164:165], v[72:75]// 000000008520: D3E10048 0D234954
	v_mfma_f32_16x16x16_bf16 v[72:75], a[86:87], v[166:167], v[72:75]// 000000008528: D3E10048 0D234D56
	v_mfma_f32_16x16x16_bf16 v[72:75], a[88:89], v[168:169], v[72:75]// 000000008530: D3E10048 0D235158
	buffer_load_dwordx4 a[212:215], v23, s[12:15], 0 offen offset:1024// 000000008538: E05C1400 8083D417
	v_mfma_f32_16x16x16_bf16 v[72:75], a[90:91], v[170:171], v[72:75]// 000000008540: D3E10048 0D23555A
	v_mfma_f32_16x16x16_bf16 v[72:75], a[92:93], v[172:173], v[72:75]// 000000008548: D3E10048 0D23595C
	v_mfma_f32_16x16x16_bf16 v[72:75], a[94:95], v[174:175], v[72:75]// 000000008550: D3E10048 0D235D5E
	v_mfma_f32_16x16x16_bf16 v[76:79], a[80:81], v[224:225], v[76:79]// 000000008558: D3E1004C 0D33C150
	buffer_load_dwordx4 a[216:219], v23, s[12:15], 0 offen offset:2048// 000000008560: E05C1800 8083D817
	v_mfma_f32_16x16x16_bf16 v[76:79], a[82:83], v[226:227], v[76:79]// 000000008568: D3E1004C 0D33C552
	v_mfma_f32_16x16x16_bf16 v[76:79], a[84:85], v[228:229], v[76:79]// 000000008570: D3E1004C 0D33C954
	v_mfma_f32_16x16x16_bf16 v[76:79], a[86:87], v[230:231], v[76:79]// 000000008578: D3E1004C 0D33CD56
	v_mfma_f32_16x16x16_bf16 v[76:79], a[88:89], v[232:233], v[76:79]// 000000008580: D3E1004C 0D33D158
	buffer_load_dwordx4 a[220:223], v23, s[12:15], 0 offen offset:3072// 000000008588: E05C1C00 8083DC17
	v_mfma_f32_16x16x16_bf16 v[76:79], a[90:91], v[234:235], v[76:79]// 000000008590: D3E1004C 0D33D55A
	v_mfma_f32_16x16x16_bf16 v[76:79], a[92:93], v[236:237], v[76:79]// 000000008598: D3E1004C 0D33D95C
	s_mov_b64 exec, s[26:27]                                   // 0000000085A0: BEFE011A
	global_atomic_pk_add_f16 v44, v15, s[8:9]                  // 0000000085A4: DD388000 00080F2C
	s_mov_b64 exec, s[38:39]                                   // 0000000085AC: BEFE0126
	v_mfma_f32_16x16x16_bf16 v[76:79], a[94:95], v[238:239], v[76:79]// 0000000085B0: D3E1004C 0D33DD5E
	s_waitcnt vmcnt(30)                                        // 0000000085B8: BF8C4F7E
	v_mfma_f32_16x16x16_bf16 v[64:67], a[96:97], v[176:177], v[64:67]// 0000000085BC: D3E10040 0D036160
	buffer_load_dwordx4 a[224:227], v24, s[12:15], 0 offen     // 0000000085C4: E05C1000 8083E018
	v_mfma_f32_16x16x16_bf16 v[64:67], a[98:99], v[178:179], v[64:67]// 0000000085CC: D3E10040 0D036562
	v_mfma_f32_16x16x16_bf16 v[64:67], a[100:101], v[180:181], v[64:67]// 0000000085D4: D3E10040 0D036964
	v_mfma_f32_16x16x16_bf16 v[64:67], a[102:103], v[182:183], v[64:67]// 0000000085DC: D3E10040 0D036D66
	v_mfma_f32_16x16x16_bf16 v[64:67], a[104:105], v[184:185], v[64:67]// 0000000085E4: D3E10040 0D037168
	buffer_load_dwordx4 a[228:231], v24, s[12:15], 0 offen offset:1024// 0000000085EC: E05C1400 8083E418
	v_mfma_f32_16x16x16_bf16 v[64:67], a[106:107], v[186:187], v[64:67]// 0000000085F4: D3E10040 0D03756A
	v_mfma_f32_16x16x16_bf16 v[64:67], a[108:109], v[188:189], v[64:67]// 0000000085FC: D3E10040 0D03796C
	v_mfma_f32_16x16x16_bf16 v[64:67], a[110:111], v[190:191], v[64:67]// 000000008604: D3E10040 0D037D6E
	v_mfma_f32_16x16x16_bf16 v[68:71], a[96:97], v[240:241], v[68:71]// 00000000860C: D3E10044 0D13E160
	buffer_load_dwordx4 a[232:235], v24, s[12:15], 0 offen offset:2048// 000000008614: E05C1800 8083E818
	v_mfma_f32_16x16x16_bf16 v[68:71], a[98:99], v[242:243], v[68:71]// 00000000861C: D3E10044 0D13E562
	v_mfma_f32_16x16x16_bf16 v[68:71], a[100:101], v[244:245], v[68:71]// 000000008624: D3E10044 0D13E964
	v_mfma_f32_16x16x16_bf16 v[68:71], a[102:103], v[246:247], v[68:71]// 00000000862C: D3E10044 0D13ED66
	v_mfma_f32_16x16x16_bf16 v[68:71], a[104:105], v[248:249], v[68:71]// 000000008634: D3E10044 0D13F168
	buffer_load_dwordx4 a[236:239], v24, s[12:15], 0 offen offset:3072// 00000000863C: E05C1C00 8083EC18
	v_mfma_f32_16x16x16_bf16 v[68:71], a[106:107], v[250:251], v[68:71]// 000000008644: D3E10044 0D13F56A
	v_mfma_f32_16x16x16_bf16 v[68:71], a[108:109], v[252:253], v[68:71]// 00000000864C: D3E10044 0D13F96C
	s_mov_b64 exec, s[28:29]                                   // 000000008654: BEFE011C
	global_atomic_pk_add_f16 v46, v16, s[8:9]                  // 000000008658: DD388000 0008102E
	s_mov_b64 exec, s[38:39]                                   // 000000008660: BEFE0126
	v_mfma_f32_16x16x16_bf16 v[68:71], a[110:111], v[254:255], v[68:71]// 000000008664: D3E10044 0D13FD6E
	v_mfma_f32_16x16x16_bf16 v[72:75], a[112:113], v[176:177], v[72:75]// 00000000866C: D3E10048 0D236170
	buffer_load_dwordx4 a[240:243], v25, s[12:15], 0 offen     // 000000008674: E05C1000 8083F019
	v_mfma_f32_16x16x16_bf16 v[72:75], a[114:115], v[178:179], v[72:75]// 00000000867C: D3E10048 0D236572
	v_mfma_f32_16x16x16_bf16 v[72:75], a[116:117], v[180:181], v[72:75]// 000000008684: D3E10048 0D236974
	v_mfma_f32_16x16x16_bf16 v[72:75], a[118:119], v[182:183], v[72:75]// 00000000868C: D3E10048 0D236D76
	v_mfma_f32_16x16x16_bf16 v[72:75], a[120:121], v[184:185], v[72:75]// 000000008694: D3E10048 0D237178
	buffer_load_dwordx4 a[244:247], v25, s[12:15], 0 offen offset:1024// 00000000869C: E05C1400 8083F419
	v_mfma_f32_16x16x16_bf16 v[72:75], a[122:123], v[186:187], v[72:75]// 0000000086A4: D3E10048 0D23757A
	v_mfma_f32_16x16x16_bf16 v[72:75], a[124:125], v[188:189], v[72:75]// 0000000086AC: D3E10048 0D23797C
	v_mfma_f32_16x16x16_bf16 v[72:75], a[126:127], v[190:191], v[72:75]// 0000000086B4: D3E10048 0D237D7E
	v_mfma_f32_16x16x16_bf16 v[76:79], a[112:113], v[240:241], v[76:79]// 0000000086BC: D3E1004C 0D33E170
	buffer_load_dwordx4 a[248:251], v25, s[12:15], 0 offen offset:2048// 0000000086C4: E05C1800 8083F819
	v_mfma_f32_16x16x16_bf16 v[76:79], a[114:115], v[242:243], v[76:79]// 0000000086CC: D3E1004C 0D33E572
	v_mfma_f32_16x16x16_bf16 v[76:79], a[116:117], v[244:245], v[76:79]// 0000000086D4: D3E1004C 0D33E974
	v_mfma_f32_16x16x16_bf16 v[76:79], a[118:119], v[246:247], v[76:79]// 0000000086DC: D3E1004C 0D33ED76
	v_mfma_f32_16x16x16_bf16 v[76:79], a[120:121], v[248:249], v[76:79]// 0000000086E4: D3E1004C 0D33F178
	buffer_load_dwordx4 a[252:255], v25, s[12:15], 0 offen offset:3072// 0000000086EC: E05C1C00 8083FC19
	v_mfma_f32_16x16x16_bf16 v[76:79], a[122:123], v[250:251], v[76:79]// 0000000086F4: D3E1004C 0D33F57A
	v_mfma_f32_16x16x16_bf16 v[76:79], a[124:125], v[252:253], v[76:79]// 0000000086FC: D3E1004C 0D33F97C
	s_mov_b64 exec, s[30:31]                                   // 000000008704: BEFE011E
	global_atomic_pk_add_f16 v48, v17, s[8:9]                  // 000000008708: DD388000 00081130
	s_mov_b64 exec, s[38:39]                                   // 000000008710: BEFE0126
	s_add_u32 s12, s56, s12                                    // 000000008714: 800C0C38
	s_addc_u32 s13, 0, s13                                     // 000000008718: 820D0D80
	v_mfma_f32_16x16x16_bf16 v[76:79], a[126:127], v[254:255], v[76:79]// 00000000871C: D3E1004C 0D33FD7E
	s_add_u32 s8, s59, s8                                      // 000000008724: 8008083B
	s_addc_u32 s9, 0, s9                                       // 000000008728: 82090980
	v_mul_f32_e32 v64, v8, v64                                 // 00000000872C: 0A808108
	v_mul_f32_e32 v65, v8, v65                                 // 000000008730: 0A828308
	v_mul_f32_e32 v66, v8, v66                                 // 000000008734: 0A848508
	v_mul_f32_e32 v67, v8, v67                                 // 000000008738: 0A868708
	v_mul_f32_e32 v68, v9, v68                                 // 00000000873C: 0A888909
	v_mul_f32_e32 v69, v9, v69                                 // 000000008740: 0A8A8B09
	v_mul_f32_e32 v70, v9, v70                                 // 000000008744: 0A8C8D09
	v_mul_f32_e32 v71, v9, v71                                 // 000000008748: 0A8E8F09
	v_mul_f32_e32 v72, v8, v72                                 // 00000000874C: 0A909108
	v_mul_f32_e32 v73, v8, v73                                 // 000000008750: 0A929308
	v_mul_f32_e32 v74, v8, v74                                 // 000000008754: 0A949508
	v_mul_f32_e32 v75, v8, v75                                 // 000000008758: 0A969708
	v_mul_f32_e32 v76, v9, v76                                 // 00000000875C: 0A989909
	v_mul_f32_e32 v77, v9, v77                                 // 000000008760: 0A9A9B09
	v_mul_f32_e32 v78, v9, v78                                 // 000000008764: 0A9C9D09
	v_mul_f32_e32 v79, v9, v79                                 // 000000008768: 0A9E9F09
	v_cvt_pkrtz_f16_f32 v64, v64, v65                          // 00000000876C: D2960040 00028340
	v_cvt_pkrtz_f16_f32 v65, v66, v67                          // 000000008774: D2960041 00028742
	v_cvt_pkrtz_f16_f32 v66, v68, v69                          // 00000000877C: D2960042 00028B44
	v_cvt_pkrtz_f16_f32 v67, v70, v71                          // 000000008784: D2960043 00028F46
	v_cvt_pkrtz_f16_f32 v68, v72, v73                          // 00000000878C: D2960044 00029348
	v_cvt_pkrtz_f16_f32 v69, v74, v75                          // 000000008794: D2960045 0002974A
	v_cvt_pkrtz_f16_f32 v70, v76, v77                          // 00000000879C: D2960046 00029B4C
	v_cvt_pkrtz_f16_f32 v71, v78, v79                          // 0000000087A4: D2960047 00029F4E
	s_addk_i32 s80, 0x80                                       // 0000000087AC: B7500080
	s_cmp_lt_i32 s80, s81                                      // 0000000087B0: BF045150
	s_cbranch_scc0 label_0D15                                  // 0000000087B4: BF84F6A7
	s_waitcnt vmcnt(30) lgkmcnt(0)                             // 0000000087B8: BF8C407E
	s_barrier                                                  // 0000000087BC: BF8A0000
	v_mfma_f32_16x16x16_bf16 v[80:83], a[128:129], v[128:129], 0// 0000000087C0: D3E10050 0A030180
	buffer_load_dwordx4 a[0:3], v18, s[12:15], 0 offen         // 0000000087C8: E05C1000 80830012
	v_mfma_f32_16x16x16_bf16 v[80:83], a[130:131], v[130:131], v[80:83]// 0000000087D0: D3E10050 0D430582
	ds_read_b32 v10, v4 offset:25344                           // 0000000087D8: D86C6300 0A000004
	ds_read_b32 v11, v4 offset:25376                           // 0000000087E0: D86C6320 0B000004
	v_mfma_f32_16x16x16_bf16 v[80:83], a[132:133], v[132:133], v[80:83]// 0000000087E8: D3E10050 0D430984
	v_mfma_f32_16x16x16_bf16 v[80:83], a[134:135], v[134:135], v[80:83]// 0000000087F0: D3E10050 0D430D86
	ds_read_b32 v12, v4 offset:25408                           // 0000000087F8: D86C6340 0C000004
	ds_read_b32 v13, v4 offset:25440                           // 000000008800: D86C6360 0D000004
	v_mfma_f32_16x16x16_bf16 v[80:83], a[136:137], v[136:137], v[80:83]// 000000008808: D3E10050 0D431188
	buffer_load_dwordx4 a[4:7], v18, s[12:15], 0 offen offset:1024// 000000008810: E05C1400 80830412
	v_mfma_f32_16x16x16_bf16 v[80:83], a[138:139], v[138:139], v[80:83]// 000000008818: D3E10050 0D43158A
	ds_read_b32 v14, v4 offset:29696                           // 000000008820: D86C7400 0E000004
	ds_read_b32 v15, v4 offset:29728                           // 000000008828: D86C7420 0F000004
	v_mfma_f32_16x16x16_bf16 v[80:83], a[140:141], v[140:141], v[80:83]// 000000008830: D3E10050 0D43198C
	v_mfma_f32_16x16x16_bf16 v[80:83], a[142:143], v[142:143], v[80:83]// 000000008838: D3E10050 0D431D8E
	ds_read_b32 v16, v4 offset:29760                           // 000000008840: D86C7440 10000004
	ds_read_b32 v17, v4 offset:29792                           // 000000008848: D86C7460 11000004
	v_mfma_f32_16x16x16_bf16 v[84:87], a[128:129], v[192:193], 0// 000000008850: D3E10054 0A038180
	buffer_load_dwordx4 a[8:11], v18, s[12:15], 0 offen offset:2048// 000000008858: E05C1800 80830812
	v_mfma_f32_16x16x16_bf16 v[84:87], a[130:131], v[194:195], v[84:87]// 000000008860: D3E10054 0D538582
	v_mfma_f32_16x16x16_bf16 v[84:87], a[132:133], v[196:197], v[84:87]// 000000008868: D3E10054 0D538984
	v_mfma_f32_16x16x16_bf16 v[84:87], a[134:135], v[198:199], v[84:87]// 000000008870: D3E10054 0D538D86
	v_mfma_f32_16x16x16_bf16 v[84:87], a[136:137], v[200:201], v[84:87]// 000000008878: D3E10054 0D539188
	buffer_load_dwordx4 a[12:15], v18, s[12:15], 0 offen offset:3072// 000000008880: E05C1C00 80830C12
	v_mfma_f32_16x16x16_bf16 v[84:87], a[138:139], v[202:203], v[84:87]// 000000008888: D3E10054 0D53958A
	v_mfma_f32_16x16x16_bf16 v[84:87], a[140:141], v[204:205], v[84:87]// 000000008890: D3E10054 0D53998C
	s_waitcnt lgkmcnt(0)                                       // 000000008898: BF8CC07F
	s_mov_b64 exec, s[16:17]                                   // 00000000889C: BEFE0110
	global_atomic_pk_add_f16 v34, v10, s[8:9]                  // 0000000088A0: DD388000 00080A22
	s_mov_b64 exec, s[38:39]                                   // 0000000088A8: BEFE0126
	v_mfma_f32_16x16x16_bf16 v[84:87], a[142:143], v[206:207], v[84:87]// 0000000088AC: D3E10054 0D539D8E
	v_mfma_f32_16x16x16_bf16 v[88:91], a[144:145], v[128:129], 0// 0000000088B4: D3E10058 0A030190
	buffer_load_dwordx4 a[16:19], v19, s[12:15], 0 offen       // 0000000088BC: E05C1000 80831013
	v_mfma_f32_16x16x16_bf16 v[88:91], a[146:147], v[130:131], v[88:91]// 0000000088C4: D3E10058 0D630592
	v_mfma_f32_16x16x16_bf16 v[88:91], a[148:149], v[132:133], v[88:91]// 0000000088CC: D3E10058 0D630994
	v_mfma_f32_16x16x16_bf16 v[88:91], a[150:151], v[134:135], v[88:91]// 0000000088D4: D3E10058 0D630D96
	v_mfma_f32_16x16x16_bf16 v[88:91], a[152:153], v[136:137], v[88:91]// 0000000088DC: D3E10058 0D631198
	buffer_load_dwordx4 a[20:23], v19, s[12:15], 0 offen offset:1024// 0000000088E4: E05C1400 80831413
	v_mfma_f32_16x16x16_bf16 v[88:91], a[154:155], v[138:139], v[88:91]// 0000000088EC: D3E10058 0D63159A
	v_mfma_f32_16x16x16_bf16 v[88:91], a[156:157], v[140:141], v[88:91]// 0000000088F4: D3E10058 0D63199C
	v_mfma_f32_16x16x16_bf16 v[88:91], a[158:159], v[142:143], v[88:91]// 0000000088FC: D3E10058 0D631D9E
	v_mfma_f32_16x16x16_bf16 v[92:95], a[144:145], v[192:193], 0// 000000008904: D3E1005C 0A038190
	buffer_load_dwordx4 a[24:27], v19, s[12:15], 0 offen offset:2048// 00000000890C: E05C1800 80831813
	v_mfma_f32_16x16x16_bf16 v[92:95], a[146:147], v[194:195], v[92:95]// 000000008914: D3E1005C 0D738592
	v_mfma_f32_16x16x16_bf16 v[92:95], a[148:149], v[196:197], v[92:95]// 00000000891C: D3E1005C 0D738994
	v_mfma_f32_16x16x16_bf16 v[92:95], a[150:151], v[198:199], v[92:95]// 000000008924: D3E1005C 0D738D96
	v_mfma_f32_16x16x16_bf16 v[92:95], a[152:153], v[200:201], v[92:95]// 00000000892C: D3E1005C 0D739198
	buffer_load_dwordx4 a[28:31], v19, s[12:15], 0 offen offset:3072// 000000008934: E05C1C00 80831C13
	v_mfma_f32_16x16x16_bf16 v[92:95], a[154:155], v[202:203], v[92:95]// 00000000893C: D3E1005C 0D73959A
	v_mfma_f32_16x16x16_bf16 v[92:95], a[156:157], v[204:205], v[92:95]// 000000008944: D3E1005C 0D73999C
	s_mov_b64 exec, s[18:19]                                   // 00000000894C: BEFE0112
	global_atomic_pk_add_f16 v36, v11, s[8:9]                  // 000000008950: DD388000 00080B24
	s_mov_b64 exec, s[38:39]                                   // 000000008958: BEFE0126
	v_mfma_f32_16x16x16_bf16 v[92:95], a[158:159], v[206:207], v[92:95]// 00000000895C: D3E1005C 0D739D9E
	s_waitcnt vmcnt(30)                                        // 000000008964: BF8C4F7E
	v_mfma_f32_16x16x16_bf16 v[80:83], a[160:161], v[144:145], v[80:83]// 000000008968: D3E10050 0D4321A0
	buffer_load_dwordx4 a[32:35], v20, s[12:15], 0 offen       // 000000008970: E05C1000 80832014
	v_mfma_f32_16x16x16_bf16 v[80:83], a[162:163], v[146:147], v[80:83]// 000000008978: D3E10050 0D4325A2
	ds_write_b64 v3, v[64:65] offset:16640                     // 000000008980: D89A4100 00004003
	v_mfma_f32_16x16x16_bf16 v[80:83], a[164:165], v[148:149], v[80:83]// 000000008988: D3E10050 0D4329A4
	v_mfma_f32_16x16x16_bf16 v[80:83], a[166:167], v[150:151], v[80:83]// 000000008990: D3E10050 0D432DA6
	ds_write_b64 v3, v[66:67] offset:20992                     // 000000008998: D89A5200 00004203
	v_mfma_f32_16x16x16_bf16 v[80:83], a[168:169], v[152:153], v[80:83]// 0000000089A0: D3E10050 0D4331A8
	buffer_load_dwordx4 a[36:39], v20, s[12:15], 0 offen offset:1024// 0000000089A8: E05C1400 80832414
	v_mfma_f32_16x16x16_bf16 v[80:83], a[170:171], v[154:155], v[80:83]// 0000000089B0: D3E10050 0D4335AA
	ds_write_b64 v3, v[68:69] offset:18816                     // 0000000089B8: D89A4980 00004403
	v_mfma_f32_16x16x16_bf16 v[80:83], a[172:173], v[156:157], v[80:83]// 0000000089C0: D3E10050 0D4339AC
	v_mfma_f32_16x16x16_bf16 v[80:83], a[174:175], v[158:159], v[80:83]// 0000000089C8: D3E10050 0D433DAE
	ds_write_b64 v3, v[70:71] offset:23168                     // 0000000089D0: D89A5A80 00004603
	v_mfma_f32_16x16x16_bf16 v[84:87], a[160:161], v[208:209], v[84:87]// 0000000089D8: D3E10054 0D53A1A0
	buffer_load_dwordx4 a[40:43], v20, s[12:15], 0 offen offset:2048// 0000000089E0: E05C1800 80832814
	v_mfma_f32_16x16x16_bf16 v[84:87], a[162:163], v[210:211], v[84:87]// 0000000089E8: D3E10054 0D53A5A2
	v_mfma_f32_16x16x16_bf16 v[84:87], a[164:165], v[212:213], v[84:87]// 0000000089F0: D3E10054 0D53A9A4
	v_mfma_f32_16x16x16_bf16 v[84:87], a[166:167], v[214:215], v[84:87]// 0000000089F8: D3E10054 0D53ADA6
	v_mfma_f32_16x16x16_bf16 v[84:87], a[168:169], v[216:217], v[84:87]// 000000008A00: D3E10054 0D53B1A8
	buffer_load_dwordx4 a[44:47], v20, s[12:15], 0 offen offset:3072// 000000008A08: E05C1C00 80832C14
	v_mfma_f32_16x16x16_bf16 v[84:87], a[170:171], v[218:219], v[84:87]// 000000008A10: D3E10054 0D53B5AA
	v_mfma_f32_16x16x16_bf16 v[84:87], a[172:173], v[220:221], v[84:87]// 000000008A18: D3E10054 0D53B9AC
	s_mov_b64 exec, s[20:21]                                   // 000000008A20: BEFE0114
	global_atomic_pk_add_f16 v38, v12, s[8:9]                  // 000000008A24: DD388000 00080C26
	s_mov_b64 exec, s[38:39]                                   // 000000008A2C: BEFE0126
	v_mfma_f32_16x16x16_bf16 v[84:87], a[174:175], v[222:223], v[84:87]// 000000008A30: D3E10054 0D53BDAE
	v_mfma_f32_16x16x16_bf16 v[88:91], a[176:177], v[144:145], v[88:91]// 000000008A38: D3E10058 0D6321B0
	buffer_load_dwordx4 a[48:51], v21, s[12:15], 0 offen       // 000000008A40: E05C1000 80833015
	v_mfma_f32_16x16x16_bf16 v[88:91], a[178:179], v[146:147], v[88:91]// 000000008A48: D3E10058 0D6325B2
	v_mfma_f32_16x16x16_bf16 v[88:91], a[180:181], v[148:149], v[88:91]// 000000008A50: D3E10058 0D6329B4
	v_mfma_f32_16x16x16_bf16 v[88:91], a[182:183], v[150:151], v[88:91]// 000000008A58: D3E10058 0D632DB6
	v_mfma_f32_16x16x16_bf16 v[88:91], a[184:185], v[152:153], v[88:91]// 000000008A60: D3E10058 0D6331B8
	buffer_load_dwordx4 a[52:55], v21, s[12:15], 0 offen offset:1024// 000000008A68: E05C1400 80833415
	v_mfma_f32_16x16x16_bf16 v[88:91], a[186:187], v[154:155], v[88:91]// 000000008A70: D3E10058 0D6335BA
	v_mfma_f32_16x16x16_bf16 v[88:91], a[188:189], v[156:157], v[88:91]// 000000008A78: D3E10058 0D6339BC
	v_mfma_f32_16x16x16_bf16 v[88:91], a[190:191], v[158:159], v[88:91]// 000000008A80: D3E10058 0D633DBE
	v_mfma_f32_16x16x16_bf16 v[92:95], a[176:177], v[208:209], v[92:95]// 000000008A88: D3E1005C 0D73A1B0
	buffer_load_dwordx4 a[56:59], v21, s[12:15], 0 offen offset:2048// 000000008A90: E05C1800 80833815
	v_mfma_f32_16x16x16_bf16 v[92:95], a[178:179], v[210:211], v[92:95]// 000000008A98: D3E1005C 0D73A5B2
	v_mfma_f32_16x16x16_bf16 v[92:95], a[180:181], v[212:213], v[92:95]// 000000008AA0: D3E1005C 0D73A9B4
	v_mfma_f32_16x16x16_bf16 v[92:95], a[182:183], v[214:215], v[92:95]// 000000008AA8: D3E1005C 0D73ADB6
	v_mfma_f32_16x16x16_bf16 v[92:95], a[184:185], v[216:217], v[92:95]// 000000008AB0: D3E1005C 0D73B1B8
	buffer_load_dwordx4 a[60:63], v21, s[12:15], 0 offen offset:3072// 000000008AB8: E05C1C00 80833C15
	v_mfma_f32_16x16x16_bf16 v[92:95], a[186:187], v[218:219], v[92:95]// 000000008AC0: D3E1005C 0D73B5BA
	v_mfma_f32_16x16x16_bf16 v[92:95], a[188:189], v[220:221], v[92:95]// 000000008AC8: D3E1005C 0D73B9BC
	s_mov_b64 exec, s[22:23]                                   // 000000008AD0: BEFE0116
	global_atomic_pk_add_f16 v40, v13, s[8:9]                  // 000000008AD4: DD388000 00080D28
	s_mov_b64 exec, s[38:39]                                   // 000000008ADC: BEFE0126
	v_mfma_f32_16x16x16_bf16 v[92:95], a[190:191], v[222:223], v[92:95]// 000000008AE0: D3E1005C 0D73BDBE
	s_waitcnt vmcnt(30)                                        // 000000008AE8: BF8C4F7E
	v_mfma_f32_16x16x16_bf16 v[80:83], a[192:193], v[160:161], v[80:83]// 000000008AEC: D3E10050 0D4341C0
	buffer_load_dwordx4 a[64:67], v22, s[12:15], 0 offen       // 000000008AF4: E05C1000 80834016
	v_mfma_f32_16x16x16_bf16 v[80:83], a[194:195], v[162:163], v[80:83]// 000000008AFC: D3E10050 0D4345C2
	v_mfma_f32_16x16x16_bf16 v[80:83], a[196:197], v[164:165], v[80:83]// 000000008B04: D3E10050 0D4349C4
	s_add_u32 s60, 0x100, s80                                  // 000000008B0C: 803C50FF 00000100
	s_cmp_lt_u32 s60, s81                                      // 000000008B14: BF0A513C
	s_cselect_b32 s56, s56, 0                                  // 000000008B18: 85388038
	v_mfma_f32_16x16x16_bf16 v[80:83], a[198:199], v[166:167], v[80:83]// 000000008B1C: D3E10050 0D434DC6
	v_mfma_f32_16x16x16_bf16 v[80:83], a[200:201], v[168:169], v[80:83]// 000000008B24: D3E10050 0D4351C8
	buffer_load_dwordx4 a[68:71], v22, s[12:15], 0 offen offset:1024// 000000008B2C: E05C1400 80834416
	v_mfma_f32_16x16x16_bf16 v[80:83], a[202:203], v[170:171], v[80:83]// 000000008B34: D3E10050 0D4355CA
	v_mfma_f32_16x16x16_bf16 v[80:83], a[204:205], v[172:173], v[80:83]// 000000008B3C: D3E10050 0D4359CC
	s_cmp_ge_u32 s80, 0x100                                    // 000000008B44: BF09FF50 00000100
	s_cselect_b32 s59, 0x100, s59                              // 000000008B4C: 853B3BFF 00000100
	v_mfma_f32_16x16x16_bf16 v[80:83], a[206:207], v[174:175], v[80:83]// 000000008B54: D3E10050 0D435DCE
	v_mfma_f32_16x16x16_bf16 v[84:87], a[192:193], v[224:225], v[84:87]// 000000008B5C: D3E10054 0D53C1C0
	buffer_load_dwordx4 a[72:75], v22, s[12:15], 0 offen offset:2048// 000000008B64: E05C1800 80834816
	v_mfma_f32_16x16x16_bf16 v[84:87], a[194:195], v[226:227], v[84:87]// 000000008B6C: D3E10054 0D53C5C2
	v_mfma_f32_16x16x16_bf16 v[84:87], a[196:197], v[228:229], v[84:87]// 000000008B74: D3E10054 0D53C9C4
	s_add_u32 s16, s57, s16                                    // 000000008B7C: 80101039
	s_addc_u32 s17, 0, s17                                     // 000000008B80: 82111180
	v_mfma_f32_16x16x16_bf16 v[84:87], a[198:199], v[230:231], v[84:87]// 000000008B84: D3E10054 0D53CDC6
	v_mfma_f32_16x16x16_bf16 v[84:87], a[200:201], v[232:233], v[84:87]// 000000008B8C: D3E10054 0D53D1C8
	buffer_load_dwordx4 a[76:79], v22, s[12:15], 0 offen offset:3072// 000000008B94: E05C1C00 80834C16
	v_mfma_f32_16x16x16_bf16 v[84:87], a[202:203], v[234:235], v[84:87]// 000000008B9C: D3E10054 0D53D5CA
	v_mfma_f32_16x16x16_bf16 v[84:87], a[204:205], v[236:237], v[84:87]// 000000008BA4: D3E10054 0D53D9CC
	s_mov_b64 exec, s[24:25]                                   // 000000008BAC: BEFE0118
	global_atomic_pk_add_f16 v42, v14, s[8:9]                  // 000000008BB0: DD388000 00080E2A
	s_mov_b64 exec, s[38:39]                                   // 000000008BB8: BEFE0126
	v_mfma_f32_16x16x16_bf16 v[84:87], a[206:207], v[238:239], v[84:87]// 000000008BBC: D3E10054 0D53DDCE
	v_mfma_f32_16x16x16_bf16 v[88:91], a[208:209], v[160:161], v[88:91]// 000000008BC4: D3E10058 0D6341D0
	buffer_load_dwordx4 a[80:83], v23, s[12:15], 0 offen       // 000000008BCC: E05C1000 80835017
	v_mfma_f32_16x16x16_bf16 v[88:91], a[210:211], v[162:163], v[88:91]// 000000008BD4: D3E10058 0D6345D2
	v_mfma_f32_16x16x16_bf16 v[88:91], a[212:213], v[164:165], v[88:91]// 000000008BDC: D3E10058 0D6349D4
	v_mfma_f32_16x16x16_bf16 v[88:91], a[214:215], v[166:167], v[88:91]// 000000008BE4: D3E10058 0D634DD6
	v_mfma_f32_16x16x16_bf16 v[88:91], a[216:217], v[168:169], v[88:91]// 000000008BEC: D3E10058 0D6351D8
	buffer_load_dwordx4 a[84:87], v23, s[12:15], 0 offen offset:1024// 000000008BF4: E05C1400 80835417
	v_mfma_f32_16x16x16_bf16 v[88:91], a[218:219], v[170:171], v[88:91]// 000000008BFC: D3E10058 0D6355DA
	v_mfma_f32_16x16x16_bf16 v[88:91], a[220:221], v[172:173], v[88:91]// 000000008C04: D3E10058 0D6359DC
	v_mfma_f32_16x16x16_bf16 v[88:91], a[222:223], v[174:175], v[88:91]// 000000008C0C: D3E10058 0D635DDE
	v_mfma_f32_16x16x16_bf16 v[92:95], a[208:209], v[224:225], v[92:95]// 000000008C14: D3E1005C 0D73C1D0
	buffer_load_dwordx4 a[88:91], v23, s[12:15], 0 offen offset:2048// 000000008C1C: E05C1800 80835817
	v_mfma_f32_16x16x16_bf16 v[92:95], a[210:211], v[226:227], v[92:95]// 000000008C24: D3E1005C 0D73C5D2
	v_mfma_f32_16x16x16_bf16 v[92:95], a[212:213], v[228:229], v[92:95]// 000000008C2C: D3E1005C 0D73C9D4
	v_mfma_f32_16x16x16_bf16 v[92:95], a[214:215], v[230:231], v[92:95]// 000000008C34: D3E1005C 0D73CDD6
	v_mfma_f32_16x16x16_bf16 v[92:95], a[216:217], v[232:233], v[92:95]// 000000008C3C: D3E1005C 0D73D1D8
	buffer_load_dwordx4 a[92:95], v23, s[12:15], 0 offen offset:3072// 000000008C44: E05C1C00 80835C17
	v_mfma_f32_16x16x16_bf16 v[92:95], a[218:219], v[234:235], v[92:95]// 000000008C4C: D3E1005C 0D73D5DA
	v_mfma_f32_16x16x16_bf16 v[92:95], a[220:221], v[236:237], v[92:95]// 000000008C54: D3E1005C 0D73D9DC
	s_mov_b64 exec, s[26:27]                                   // 000000008C5C: BEFE011A
	global_atomic_pk_add_f16 v44, v15, s[8:9]                  // 000000008C60: DD388000 00080F2C
	s_mov_b64 exec, s[38:39]                                   // 000000008C68: BEFE0126
	v_mfma_f32_16x16x16_bf16 v[92:95], a[222:223], v[238:239], v[92:95]// 000000008C6C: D3E1005C 0D73DDDE
	s_waitcnt vmcnt(30)                                        // 000000008C74: BF8C4F7E
	v_mfma_f32_16x16x16_bf16 v[80:83], a[224:225], v[176:177], v[80:83]// 000000008C78: D3E10050 0D4361E0
	buffer_load_dwordx4 a[96:99], v24, s[12:15], 0 offen       // 000000008C80: E05C1000 80836018
	v_mfma_f32_16x16x16_bf16 v[80:83], a[226:227], v[178:179], v[80:83]// 000000008C88: D3E10050 0D4365E2
	v_mfma_f32_16x16x16_bf16 v[80:83], a[228:229], v[180:181], v[80:83]// 000000008C90: D3E10050 0D4369E4
	v_mfma_f32_16x16x16_bf16 v[80:83], a[230:231], v[182:183], v[80:83]// 000000008C98: D3E10050 0D436DE6
	v_mfma_f32_16x16x16_bf16 v[80:83], a[232:233], v[184:185], v[80:83]// 000000008CA0: D3E10050 0D4371E8
	buffer_load_dwordx4 a[100:103], v24, s[12:15], 0 offen offset:1024// 000000008CA8: E05C1400 80836418
	v_mfma_f32_16x16x16_bf16 v[80:83], a[234:235], v[186:187], v[80:83]// 000000008CB0: D3E10050 0D4375EA
	v_mfma_f32_16x16x16_bf16 v[80:83], a[236:237], v[188:189], v[80:83]// 000000008CB8: D3E10050 0D4379EC
	v_mfma_f32_16x16x16_bf16 v[80:83], a[238:239], v[190:191], v[80:83]// 000000008CC0: D3E10050 0D437DEE
	v_mfma_f32_16x16x16_bf16 v[84:87], a[224:225], v[240:241], v[84:87]// 000000008CC8: D3E10054 0D53E1E0
	buffer_load_dwordx4 a[104:107], v24, s[12:15], 0 offen offset:2048// 000000008CD0: E05C1800 80836818
	v_mfma_f32_16x16x16_bf16 v[84:87], a[226:227], v[242:243], v[84:87]// 000000008CD8: D3E10054 0D53E5E2
	v_mfma_f32_16x16x16_bf16 v[84:87], a[228:229], v[244:245], v[84:87]// 000000008CE0: D3E10054 0D53E9E4
	v_mfma_f32_16x16x16_bf16 v[84:87], a[230:231], v[246:247], v[84:87]// 000000008CE8: D3E10054 0D53EDE6
	v_mfma_f32_16x16x16_bf16 v[84:87], a[232:233], v[248:249], v[84:87]// 000000008CF0: D3E10054 0D53F1E8
	buffer_load_dwordx4 a[108:111], v24, s[12:15], 0 offen offset:3072// 000000008CF8: E05C1C00 80836C18
	v_mfma_f32_16x16x16_bf16 v[84:87], a[234:235], v[250:251], v[84:87]// 000000008D00: D3E10054 0D53F5EA
	v_mfma_f32_16x16x16_bf16 v[84:87], a[236:237], v[252:253], v[84:87]// 000000008D08: D3E10054 0D53F9EC
	s_mov_b64 exec, s[28:29]                                   // 000000008D10: BEFE011C
	global_atomic_pk_add_f16 v46, v16, s[8:9]                  // 000000008D14: DD388000 0008102E
	s_mov_b64 exec, s[38:39]                                   // 000000008D1C: BEFE0126
	v_mfma_f32_16x16x16_bf16 v[84:87], a[238:239], v[254:255], v[84:87]// 000000008D20: D3E10054 0D53FDEE
	v_mfma_f32_16x16x16_bf16 v[88:91], a[240:241], v[176:177], v[88:91]// 000000008D28: D3E10058 0D6361F0
	buffer_load_dwordx4 a[112:115], v25, s[12:15], 0 offen     // 000000008D30: E05C1000 80837019
	v_mfma_f32_16x16x16_bf16 v[88:91], a[242:243], v[178:179], v[88:91]// 000000008D38: D3E10058 0D6365F2
	v_mfma_f32_16x16x16_bf16 v[88:91], a[244:245], v[180:181], v[88:91]// 000000008D40: D3E10058 0D6369F4
	v_mfma_f32_16x16x16_bf16 v[88:91], a[246:247], v[182:183], v[88:91]// 000000008D48: D3E10058 0D636DF6
	v_mfma_f32_16x16x16_bf16 v[88:91], a[248:249], v[184:185], v[88:91]// 000000008D50: D3E10058 0D6371F8
	buffer_load_dwordx4 a[116:119], v25, s[12:15], 0 offen offset:1024// 000000008D58: E05C1400 80837419
	v_mfma_f32_16x16x16_bf16 v[88:91], a[250:251], v[186:187], v[88:91]// 000000008D60: D3E10058 0D6375FA
	v_mfma_f32_16x16x16_bf16 v[88:91], a[252:253], v[188:189], v[88:91]// 000000008D68: D3E10058 0D6379FC
	v_mfma_f32_16x16x16_bf16 v[88:91], a[254:255], v[190:191], v[88:91]// 000000008D70: D3E10058 0D637DFE
	v_mfma_f32_16x16x16_bf16 v[92:95], a[240:241], v[240:241], v[92:95]// 000000008D78: D3E1005C 0D73E1F0
	buffer_load_dwordx4 a[120:123], v25, s[12:15], 0 offen offset:2048// 000000008D80: E05C1800 80837819
	v_mfma_f32_16x16x16_bf16 v[92:95], a[242:243], v[242:243], v[92:95]// 000000008D88: D3E1005C 0D73E5F2
	v_mfma_f32_16x16x16_bf16 v[92:95], a[244:245], v[244:245], v[92:95]// 000000008D90: D3E1005C 0D73E9F4
	v_mfma_f32_16x16x16_bf16 v[92:95], a[246:247], v[246:247], v[92:95]// 000000008D98: D3E1005C 0D73EDF6
	v_mfma_f32_16x16x16_bf16 v[92:95], a[248:249], v[248:249], v[92:95]// 000000008DA0: D3E1005C 0D73F1F8
	buffer_load_dwordx4 a[124:127], v25, s[12:15], 0 offen offset:3072// 000000008DA8: E05C1C00 80837C19
	v_mfma_f32_16x16x16_bf16 v[92:95], a[250:251], v[250:251], v[92:95]// 000000008DB0: D3E1005C 0D73F5FA
	v_mfma_f32_16x16x16_bf16 v[92:95], a[252:253], v[252:253], v[92:95]// 000000008DB8: D3E1005C 0D73F9FC
	s_mov_b64 exec, s[30:31]                                   // 000000008DC0: BEFE011E
	global_atomic_pk_add_f16 v48, v17, s[8:9]                  // 000000008DC4: DD388000 00081130
	s_mov_b64 exec, s[38:39]                                   // 000000008DCC: BEFE0126
	s_add_u32 s12, s56, s12                                    // 000000008DD0: 800C0C38
	s_addc_u32 s13, 0, s13                                     // 000000008DD4: 820D0D80
	v_mfma_f32_16x16x16_bf16 v[92:95], a[254:255], v[254:255], v[92:95]// 000000008DD8: D3E1005C 0D73FDFE
	s_add_u32 s8, s59, s8                                      // 000000008DE0: 8008083B
	s_addc_u32 s9, 0, s9                                       // 000000008DE4: 82090980
	v_mul_f32_e32 v80, v8, v80                                 // 000000008DE8: 0AA0A108
	v_mul_f32_e32 v81, v8, v81                                 // 000000008DEC: 0AA2A308
	v_mul_f32_e32 v82, v8, v82                                 // 000000008DF0: 0AA4A508
	v_mul_f32_e32 v83, v8, v83                                 // 000000008DF4: 0AA6A708
	v_mul_f32_e32 v84, v9, v84                                 // 000000008DF8: 0AA8A909
	v_mul_f32_e32 v85, v9, v85                                 // 000000008DFC: 0AAAAB09
	v_mul_f32_e32 v86, v9, v86                                 // 000000008E00: 0AACAD09
	v_mul_f32_e32 v87, v9, v87                                 // 000000008E04: 0AAEAF09
	v_mul_f32_e32 v88, v8, v88                                 // 000000008E08: 0AB0B108
	v_mul_f32_e32 v89, v8, v89                                 // 000000008E0C: 0AB2B308
	v_mul_f32_e32 v90, v8, v90                                 // 000000008E10: 0AB4B508
	v_mul_f32_e32 v91, v8, v91                                 // 000000008E14: 0AB6B708
	v_mul_f32_e32 v92, v9, v92                                 // 000000008E18: 0AB8B909
	v_mul_f32_e32 v93, v9, v93                                 // 000000008E1C: 0ABABB09
	v_mul_f32_e32 v94, v9, v94                                 // 000000008E20: 0ABCBD09
	v_mul_f32_e32 v95, v9, v95                                 // 000000008E24: 0ABEBF09
	v_cvt_pkrtz_f16_f32 v80, v80, v81                          // 000000008E28: D2960050 0002A350
	v_cvt_pkrtz_f16_f32 v81, v82, v83                          // 000000008E30: D2960051 0002A752
	v_cvt_pkrtz_f16_f32 v82, v84, v85                          // 000000008E38: D2960052 0002AB54
	v_cvt_pkrtz_f16_f32 v83, v86, v87                          // 000000008E40: D2960053 0002AF56
	v_cvt_pkrtz_f16_f32 v84, v88, v89                          // 000000008E48: D2960054 0002B358
	v_cvt_pkrtz_f16_f32 v85, v90, v91                          // 000000008E50: D2960055 0002B75A
	v_cvt_pkrtz_f16_f32 v86, v92, v93                          // 000000008E58: D2960056 0002BB5C
	v_cvt_pkrtz_f16_f32 v87, v94, v95                          // 000000008E60: D2960057 0002BF5E
	s_addk_i32 s80, 0x80                                       // 000000008E68: B7500080
	s_cmp_lt_i32 s80, s81                                      // 000000008E6C: BF045150
	s_cbranch_scc0 label_0D15                                  // 000000008E70: BF84F4F8
	s_branch label_14BF                                        // 000000008E74: BF82FCA1

0000000000008e78 <label_181E>:
	s_waitcnt lgkmcnt(0)                                       // 000000008E78: BF8CC07F
	s_barrier                                                  // 000000008E7C: BF8A0000
	ds_read_b32 v10, v4 offset:16640                           // 000000008E80: D86C4100 0A000004
	ds_read_b32 v11, v4 offset:16672                           // 000000008E88: D86C4120 0B000004
	ds_read_b32 v12, v4 offset:16704                           // 000000008E90: D86C4140 0C000004
	ds_read_b32 v13, v4 offset:16736                           // 000000008E98: D86C4160 0D000004
	ds_read_b32 v14, v4 offset:20992                           // 000000008EA0: D86C5200 0E000004
	ds_read_b32 v15, v4 offset:21024                           // 000000008EA8: D86C5220 0F000004
	ds_read_b32 v16, v4 offset:21056                           // 000000008EB0: D86C5240 10000004
	ds_read_b32 v17, v4 offset:21088                           // 000000008EB8: D86C5260 11000004
	s_waitcnt lgkmcnt(0)                                       // 000000008EC0: BF8CC07F
	s_mov_b64 exec, s[16:17]                                   // 000000008EC4: BEFE0110
	global_atomic_pk_add_f16 v34, v10, s[8:9]                  // 000000008EC8: DD388000 00080A22
	s_mov_b64 exec, s[38:39]                                   // 000000008ED0: BEFE0126
	s_mov_b64 exec, s[18:19]                                   // 000000008ED4: BEFE0112
	global_atomic_pk_add_f16 v36, v11, s[8:9]                  // 000000008ED8: DD388000 00080B24
	s_mov_b64 exec, s[38:39]                                   // 000000008EE0: BEFE0126
	s_mov_b64 exec, s[20:21]                                   // 000000008EE4: BEFE0114
	global_atomic_pk_add_f16 v38, v12, s[8:9]                  // 000000008EE8: DD388000 00080C26
	s_mov_b64 exec, s[38:39]                                   // 000000008EF0: BEFE0126
	s_mov_b64 exec, s[22:23]                                   // 000000008EF4: BEFE0116
	global_atomic_pk_add_f16 v40, v13, s[8:9]                  // 000000008EF8: DD388000 00080D28
	s_mov_b64 exec, s[38:39]                                   // 000000008F00: BEFE0126
	s_mov_b64 exec, s[24:25]                                   // 000000008F04: BEFE0118
	global_atomic_pk_add_f16 v42, v14, s[8:9]                  // 000000008F08: DD388000 00080E2A
	s_mov_b64 exec, s[38:39]                                   // 000000008F10: BEFE0126
	s_mov_b64 exec, s[26:27]                                   // 000000008F14: BEFE011A
	global_atomic_pk_add_f16 v44, v15, s[8:9]                  // 000000008F18: DD388000 00080F2C
	s_mov_b64 exec, s[38:39]                                   // 000000008F20: BEFE0126
	s_mov_b64 exec, s[28:29]                                   // 000000008F24: BEFE011C
	global_atomic_pk_add_f16 v46, v16, s[8:9]                  // 000000008F28: DD388000 0008102E
	s_mov_b64 exec, s[38:39]                                   // 000000008F30: BEFE0126
	s_mov_b64 exec, s[30:31]                                   // 000000008F34: BEFE011E
	global_atomic_pk_add_f16 v48, v17, s[8:9]                  // 000000008F38: DD388000 00081130
	s_mov_b64 exec, s[38:39]                                   // 000000008F40: BEFE0126
	s_add_u32 s8, s59, s8                                      // 000000008F44: 8008083B
	s_addc_u32 s9, 0, s9                                       // 000000008F48: 82090980
	ds_write_b64 v3, v[80:81] offset:25344                     // 000000008F4C: D89A6300 00005003
	ds_write_b64 v3, v[82:83] offset:29696                     // 000000008F54: D89A7400 00005203
	ds_write_b64 v3, v[84:85] offset:27520                     // 000000008F5C: D89A6B80 00005403
	ds_write_b64 v3, v[86:87] offset:31872                     // 000000008F64: D89A7C80 00005603
	s_waitcnt lgkmcnt(0)                                       // 000000008F6C: BF8CC07F
	s_barrier                                                  // 000000008F70: BF8A0000
	ds_read_b32 v10, v4 offset:25344                           // 000000008F74: D86C6300 0A000004
	ds_read_b32 v11, v4 offset:25376                           // 000000008F7C: D86C6320 0B000004
	ds_read_b32 v12, v4 offset:25408                           // 000000008F84: D86C6340 0C000004
	ds_read_b32 v13, v4 offset:25440                           // 000000008F8C: D86C6360 0D000004
	ds_read_b32 v14, v4 offset:29696                           // 000000008F94: D86C7400 0E000004
	ds_read_b32 v15, v4 offset:29728                           // 000000008F9C: D86C7420 0F000004
	ds_read_b32 v16, v4 offset:29760                           // 000000008FA4: D86C7440 10000004
	ds_read_b32 v17, v4 offset:29792                           // 000000008FAC: D86C7460 11000004
	s_waitcnt lgkmcnt(0)                                       // 000000008FB4: BF8CC07F
	s_mov_b64 exec, s[16:17]                                   // 000000008FB8: BEFE0110
	global_atomic_pk_add_f16 v34, v10, s[8:9]                  // 000000008FBC: DD388000 00080A22
	s_mov_b64 exec, s[38:39]                                   // 000000008FC4: BEFE0126
	s_mov_b64 exec, s[18:19]                                   // 000000008FC8: BEFE0112
	global_atomic_pk_add_f16 v36, v11, s[8:9]                  // 000000008FCC: DD388000 00080B24
	s_mov_b64 exec, s[38:39]                                   // 000000008FD4: BEFE0126
	s_mov_b64 exec, s[20:21]                                   // 000000008FD8: BEFE0114
	global_atomic_pk_add_f16 v38, v12, s[8:9]                  // 000000008FDC: DD388000 00080C26
	s_mov_b64 exec, s[38:39]                                   // 000000008FE4: BEFE0126
	s_mov_b64 exec, s[22:23]                                   // 000000008FE8: BEFE0116
	global_atomic_pk_add_f16 v40, v13, s[8:9]                  // 000000008FEC: DD388000 00080D28
	s_mov_b64 exec, s[38:39]                                   // 000000008FF4: BEFE0126
	s_mov_b64 exec, s[24:25]                                   // 000000008FF8: BEFE0118
	global_atomic_pk_add_f16 v42, v14, s[8:9]                  // 000000008FFC: DD388000 00080E2A
	s_mov_b64 exec, s[38:39]                                   // 000000009004: BEFE0126
	s_mov_b64 exec, s[26:27]                                   // 000000009008: BEFE011A
	global_atomic_pk_add_f16 v44, v15, s[8:9]                  // 00000000900C: DD388000 00080F2C
	s_mov_b64 exec, s[38:39]                                   // 000000009014: BEFE0126
	s_mov_b64 exec, s[28:29]                                   // 000000009018: BEFE011C
	global_atomic_pk_add_f16 v46, v16, s[8:9]                  // 00000000901C: DD388000 0008102E
	s_mov_b64 exec, s[38:39]                                   // 000000009024: BEFE0126
	s_mov_b64 exec, s[30:31]                                   // 000000009028: BEFE011E
	global_atomic_pk_add_f16 v48, v17, s[8:9]                  // 00000000902C: DD388000 00081130
	s_mov_b64 exec, s[38:39]                                   // 000000009034: BEFE0126

0000000000009038 <label_188E>:
	s_waitcnt vmcnt(0) expcnt(0) lgkmcnt(0)                    // 000000009038: BF8C0000
	s_endpgm                                                   // 00000000903C: BF810000
